;; amdgpu-corpus repo=ROCm/rocFFT kind=compiled arch=gfx1201 opt=O3
	.text
	.amdgcn_target "amdgcn-amd-amdhsa--gfx1201"
	.amdhsa_code_object_version 6
	.protected	bluestein_single_back_len1820_dim1_half_op_CI_CI ; -- Begin function bluestein_single_back_len1820_dim1_half_op_CI_CI
	.globl	bluestein_single_back_len1820_dim1_half_op_CI_CI
	.p2align	8
	.type	bluestein_single_back_len1820_dim1_half_op_CI_CI,@function
bluestein_single_back_len1820_dim1_half_op_CI_CI: ; @bluestein_single_back_len1820_dim1_half_op_CI_CI
; %bb.0:
	s_load_b128 s[16:19], s[0:1], 0x28
	v_mul_u32_u24_e32 v1, 0x169, v0
	s_mov_b32 s2, exec_lo
	v_mov_b32_e32 v21, 0
	s_delay_alu instid0(VALU_DEP_2) | instskip(NEXT) | instid1(VALU_DEP_1)
	v_lshrrev_b32_e32 v1, 16, v1
	v_add_nc_u32_e32 v20, ttmp9, v1
	s_wait_kmcnt 0x0
	s_delay_alu instid0(VALU_DEP_1)
	v_cmpx_gt_u64_e64 s[16:17], v[20:21]
	s_cbranch_execz .LBB0_18
; %bb.1:
	s_clause 0x1
	s_load_b128 s[4:7], s[0:1], 0x18
	s_load_b128 s[8:11], s[0:1], 0x0
	v_mul_lo_u16 v1, 0xb6, v1
                                        ; implicit-def: $vgpr86
                                        ; implicit-def: $vgpr88
	s_delay_alu instid0(VALU_DEP_1)
	v_sub_nc_u16 v1, v0, v1
	s_wait_kmcnt 0x0
	s_load_b128 s[12:15], s[4:5], 0x0
	s_wait_kmcnt 0x0
	v_mad_co_u64_u32 v[2:3], null, s14, v20, 0
	v_and_b32_e32 v55, 0xffff, v1
	s_mul_u64 s[2:3], s[12:13], 0x2d8
	s_delay_alu instid0(VALU_DEP_2) | instskip(NEXT) | instid1(VALU_DEP_2)
	v_mov_b32_e32 v0, v3
	v_mad_co_u64_u32 v[4:5], null, s12, v55, 0
	v_lshlrev_b32_e32 v61, 2, v55
	s_clause 0x7
	global_load_b32 v57, v61, s[8:9]
	global_load_b32 v58, v61, s[8:9] offset:728
	global_load_b32 v56, v61, s[8:9] offset:1456
	;; [unrolled: 1-line block ×7, first 2 shown]
	v_dual_mov_b32 v3, v5 :: v_dual_add_nc_u32 v14, 0x500, v61
	v_mad_co_u64_u32 v[5:6], null, s15, v20, v[0:1]
	s_clause 0x1
	global_load_b32 v43, v61, s[8:9] offset:5824
	global_load_b32 v41, v61, s[8:9] offset:6552
	v_mad_co_u64_u32 v[6:7], null, s13, v55, v[3:4]
	v_add_nc_u32_e32 v15, 0x1600, v61
	v_mov_b32_e32 v3, v5
	s_delay_alu instid0(VALU_DEP_3) | instskip(NEXT) | instid1(VALU_DEP_2)
	v_mov_b32_e32 v5, v6
	v_lshlrev_b64_e32 v[2:3], 2, v[2:3]
	s_delay_alu instid0(VALU_DEP_2) | instskip(NEXT) | instid1(VALU_DEP_2)
	v_lshlrev_b64_e32 v[4:5], 2, v[4:5]
	v_add_co_u32 v0, vcc_lo, s18, v2
	s_delay_alu instid0(VALU_DEP_3) | instskip(NEXT) | instid1(VALU_DEP_2)
	v_add_co_ci_u32_e32 v3, vcc_lo, s19, v3, vcc_lo
	v_add_co_u32 v2, vcc_lo, v0, v4
	v_add_nc_u32_e32 v0, 0x1000, v61
	s_wait_alu 0xfffd
	s_delay_alu instid0(VALU_DEP_3) | instskip(NEXT) | instid1(VALU_DEP_3)
	v_add_co_ci_u32_e32 v3, vcc_lo, v3, v5, vcc_lo
	v_add_co_u32 v4, vcc_lo, v2, s2
	s_wait_alu 0xfffd
	s_delay_alu instid0(VALU_DEP_2)
	v_add_co_ci_u32_e32 v5, vcc_lo, s3, v3, vcc_lo
	s_clause 0x1
	global_load_b32 v6, v[2:3], off
	global_load_b32 v7, v[4:5], off
	v_add_co_u32 v2, vcc_lo, v4, s2
	s_wait_alu 0xfffd
	v_add_co_ci_u32_e32 v3, vcc_lo, s3, v5, vcc_lo
	s_delay_alu instid0(VALU_DEP_2) | instskip(SKIP_1) | instid1(VALU_DEP_2)
	v_add_co_u32 v4, vcc_lo, v2, s2
	s_wait_alu 0xfffd
	v_add_co_ci_u32_e32 v5, vcc_lo, s3, v3, vcc_lo
	s_clause 0x1
	global_load_b32 v8, v[2:3], off
	global_load_b32 v9, v[4:5], off
	v_add_co_u32 v2, vcc_lo, v4, s2
	s_wait_alu 0xfffd
	v_add_co_ci_u32_e32 v3, vcc_lo, s3, v5, vcc_lo
	s_delay_alu instid0(VALU_DEP_2) | instskip(SKIP_1) | instid1(VALU_DEP_2)
	v_add_co_u32 v4, vcc_lo, v2, s2
	s_wait_alu 0xfffd
	v_add_co_ci_u32_e32 v5, vcc_lo, s3, v3, vcc_lo
	global_load_b32 v10, v[2:3], off
	v_add_co_u32 v2, vcc_lo, v4, s2
	s_wait_alu 0xfffd
	v_add_co_ci_u32_e32 v3, vcc_lo, s3, v5, vcc_lo
	global_load_b32 v11, v[4:5], off
	;; [unrolled: 4-line block ×5, first 2 shown]
	global_load_b32 v3, v[4:5], off
	v_add_nc_u32_e32 v4, 0xb00, v61
	s_load_b128 s[4:7], s[6:7], 0x0
	v_cmp_gt_u16_e32 vcc_lo, 0x8c, v1
	s_load_b64 s[2:3], s[0:1], 0x38
	s_wait_loadcnt 0x13
	v_lshrrev_b32_e32 v62, 16, v57
	s_wait_loadcnt 0x12
	v_lshrrev_b32_e32 v60, 16, v58
	;; [unrolled: 2-line block ×11, first 2 shown]
	v_mul_f16_e32 v16, v62, v6
	s_wait_loadcnt 0x8
	v_lshrrev_b32_e32 v18, 16, v7
	v_mul_f16_e32 v19, v60, v7
	v_mul_f16_e32 v17, v62, v5
	v_fma_f16 v5, v57, v5, -v16
	s_delay_alu instid0(VALU_DEP_2)
	v_fmac_f16_e32 v17, v57, v6
	v_mul_f16_e32 v6, v60, v18
	v_fma_f16 v18, v58, v18, -v19
	s_wait_loadcnt 0x7
	v_lshrrev_b32_e32 v16, 16, v8
	v_pack_b32_f16 v5, v17, v5
	v_fmac_f16_e32 v6, v58, v7
	s_wait_loadcnt 0x6
	v_lshrrev_b32_e32 v17, 16, v9
	v_mul_f16_e32 v19, v59, v8
	v_mul_f16_e32 v7, v59, v16
	v_pack_b32_f16 v6, v6, v18
	s_delay_alu instid0(VALU_DEP_3) | instskip(NEXT) | instid1(VALU_DEP_3)
	v_fma_f16 v16, v56, v16, -v19
	v_fmac_f16_e32 v7, v56, v8
	v_mul_f16_e32 v8, v54, v17
	s_wait_loadcnt 0x5
	v_lshrrev_b32_e32 v18, 16, v10
	v_mul_f16_e32 v19, v54, v9
	v_mul_f16_e32 v21, v52, v10
	v_pack_b32_f16 v7, v7, v16
	v_fmac_f16_e32 v8, v53, v9
	v_mul_f16_e32 v9, v52, v18
	v_fma_f16 v17, v53, v17, -v19
	v_fma_f16 v16, v51, v18, -v21
	s_wait_loadcnt 0x4
	v_lshrrev_b32_e32 v18, 16, v11
	v_mul_f16_e32 v19, v50, v11
	v_fmac_f16_e32 v9, v51, v10
	s_wait_loadcnt 0x3
	v_lshrrev_b32_e32 v10, 16, v12
	v_pack_b32_f16 v8, v8, v17
	v_mul_f16_e32 v17, v50, v18
	v_fma_f16 v18, v49, v18, -v19
	v_mul_f16_e32 v19, v48, v12
	v_pack_b32_f16 v9, v9, v16
	v_mul_f16_e32 v16, v48, v10
	v_fmac_f16_e32 v17, v49, v11
	s_wait_loadcnt 0x2
	v_lshrrev_b32_e32 v11, 16, v13
	v_fma_f16 v10, v47, v10, -v19
	v_mul_f16_e32 v19, v46, v13
	v_fmac_f16_e32 v16, v47, v12
	s_wait_loadcnt 0x1
	v_lshrrev_b32_e32 v12, 16, v2
	s_wait_loadcnt 0x0
	v_lshrrev_b32_e32 v22, 16, v3
	v_mul_f16_e32 v21, v46, v11
	v_fma_f16 v11, v45, v11, -v19
	v_mul_f16_e32 v19, v44, v2
	v_mul_f16_e32 v23, v44, v12
	;; [unrolled: 1-line block ×4, first 2 shown]
	v_fmac_f16_e32 v21, v45, v13
	v_fma_f16 v12, v43, v12, -v19
	v_fmac_f16_e32 v23, v43, v2
	v_fma_f16 v2, v41, v22, -v24
	v_fmac_f16_e32 v25, v41, v3
	v_pack_b32_f16 v3, v17, v18
	v_pack_b32_f16 v10, v16, v10
	;; [unrolled: 1-line block ×5, first 2 shown]
	ds_store_2addr_b32 v61, v5, v6 offset1:182
	ds_store_2addr_b32 v14, v7, v8 offset0:44 offset1:226
	ds_store_2addr_b32 v4, v9, v3 offset0:24 offset1:206
	;; [unrolled: 1-line block ×4, first 2 shown]
	global_wb scope:SCOPE_SE
	s_wait_dscnt 0x0
	s_wait_kmcnt 0x0
	s_barrier_signal -1
	s_barrier_wait -1
	global_inv scope:SCOPE_SE
	ds_load_2addr_b32 v[2:3], v4 offset0:24 offset1:206
	ds_load_2addr_b32 v[4:5], v0 offset0:68 offset1:250
	;; [unrolled: 1-line block ×4, first 2 shown]
	ds_load_2addr_b32 v[10:11], v61 offset1:182
	v_mul_lo_u16 v12, v1, 10
	global_wb scope:SCOPE_SE
	s_wait_dscnt 0x0
	s_barrier_signal -1
	s_barrier_wait -1
	global_inv scope:SCOPE_SE
	v_and_b32_e32 v12, 0xffff, v12
	s_delay_alu instid0(VALU_DEP_1)
	v_lshlrev_b32_e32 v31, 2, v12
	v_lshrrev_b32_e32 v14, 16, v2
	v_add_f16_e32 v1, v2, v4
	v_lshrrev_b32_e32 v12, 16, v6
	v_lshrrev_b32_e32 v13, 16, v8
	;; [unrolled: 1-line block ×3, first 2 shown]
	v_sub_f16_e32 v16, v8, v4
	v_sub_f16_e32 v17, v6, v2
	v_add_f16_e32 v18, v6, v8
	v_sub_f16_e32 v19, v4, v8
	v_sub_f16_e32 v21, v2, v6
	v_pk_add_f16 v22, v10, v6
	v_add_f16_e32 v24, v3, v5
	v_lshrrev_b32_e32 v26, 16, v7
	v_lshrrev_b32_e32 v27, 16, v9
	;; [unrolled: 1-line block ×4, first 2 shown]
	v_add_f16_e32 v33, v7, v9
	v_pk_add_f16 v36, v11, v7
	v_lshrrev_b32_e32 v25, 16, v10
	v_sub_f16_e32 v23, v2, v4
	v_sub_f16_e32 v32, v7, v3
	;; [unrolled: 1-line block ×3, first 2 shown]
	v_lshrrev_b32_e32 v37, 16, v11
	v_sub_f16_e32 v38, v3, v5
	v_fma_f16 v1, -0.5, v1, v10
	v_sub_f16_e32 v39, v12, v13
	v_sub_f16_e32 v40, v14, v15
	v_add_f16_e32 v16, v17, v16
	v_fma_f16 v10, -0.5, v18, v10
	v_add_f16_e32 v17, v21, v19
	v_pk_add_f16 v2, v22, v2
	v_add_f16_e32 v18, v14, v15
	v_sub_f16_e32 v19, v12, v14
	v_sub_f16_e32 v21, v13, v15
	v_add_f16_e32 v22, v12, v13
	v_sub_f16_e32 v12, v14, v12
	v_sub_f16_e32 v13, v15, v13
	v_fma_f16 v15, -0.5, v24, v11
	v_sub_f16_e32 v14, v26, v27
	v_sub_f16_e32 v24, v28, v29
	v_fma_f16 v11, -0.5, v33, v11
	v_pk_add_f16 v3, v36, v3
	v_add_f16_e32 v33, v28, v29
	v_add_f16_e32 v36, v26, v27
	v_sub_f16_e32 v30, v9, v5
	v_sub_f16_e32 v34, v5, v9
	;; [unrolled: 1-line block ×3, first 2 shown]
	v_pk_add_f16 v2, v2, v4
	v_fma_f16 v4, -0.5, v18, v25
	v_add_f16_e32 v18, v19, v21
	v_fmamk_f16 v19, v14, 0x3b9c, v15
	v_fmamk_f16 v21, v24, 0xbb9c, v11
	v_fmac_f16_e32 v11, 0x3b9c, v24
	v_pk_add_f16 v3, v3, v5
	v_fma_f16 v5, -0.5, v33, v37
	v_fmac_f16_e32 v37, -0.5, v36
	v_fmac_f16_e32 v15, 0xbb9c, v14
	v_add_f16_e32 v30, v32, v30
	v_add_f16_e32 v32, v35, v34
	v_sub_f16_e32 v34, v26, v28
	v_sub_f16_e32 v35, v27, v29
	v_sub_f16_e32 v26, v28, v26
	v_sub_f16_e32 v27, v29, v27
	v_fmac_f16_e32 v25, -0.5, v22
	v_fmac_f16_e32 v19, 0x38b4, v24
	v_fmac_f16_e32 v21, 0x38b4, v14
	v_fmac_f16_e32 v11, 0xb8b4, v14
	v_pk_add_f16 v3, v3, v9
	v_fmamk_f16 v9, v7, 0xbb9c, v5
	v_fmamk_f16 v14, v38, 0x3b9c, v37
	v_fmac_f16_e32 v37, 0xbb9c, v38
	v_fmac_f16_e32 v15, 0xb8b4, v24
	v_fmac_f16_e32 v5, 0x3b9c, v7
	v_sub_f16_e32 v6, v6, v8
	v_add_f16_e32 v22, v34, v35
	v_add_f16_e32 v27, v26, v27
	v_pk_add_f16 v2, v2, v8
	v_fmamk_f16 v33, v23, 0x3b9c, v25
	v_fmac_f16_e32 v25, 0xbb9c, v23
	v_fmac_f16_e32 v19, 0x34f2, v30
	;; [unrolled: 1-line block ×7, first 2 shown]
	v_fmamk_f16 v28, v39, 0x3b9c, v1
	v_fmamk_f16 v29, v40, 0xbb9c, v10
	v_fmac_f16_e32 v10, 0x3b9c, v40
	v_add_f16_e32 v13, v12, v13
	v_fmamk_f16 v8, v6, 0xbb9c, v4
	v_fmac_f16_e32 v33, 0xb8b4, v6
	v_fmac_f16_e32 v25, 0x38b4, v6
	;; [unrolled: 1-line block ×4, first 2 shown]
	v_pk_add_f16 v12, v2, v3
	v_pk_add_f16 v26, v2, v3 neg_lo:[0,1] neg_hi:[0,1]
	v_fmac_f16_e32 v9, 0x34f2, v22
	v_fmac_f16_e32 v14, 0x34f2, v27
	;; [unrolled: 1-line block ×3, first 2 shown]
	v_mul_f16_e32 v2, 0x3a79, v19
	v_mul_f16_e32 v7, 0xb8b4, v19
	v_fmac_f16_e32 v1, 0xbb9c, v39
	v_fmac_f16_e32 v4, 0x3b9c, v6
	;; [unrolled: 1-line block ×3, first 2 shown]
	v_mul_f16_e32 v6, 0x3a79, v15
	v_fmac_f16_e32 v28, 0x38b4, v40
	v_fmac_f16_e32 v29, 0x38b4, v39
	v_fmac_f16_e32 v10, 0xb8b4, v39
	v_fmac_f16_e32 v8, 0xb8b4, v23
	v_fmac_f16_e32 v33, 0x34f2, v13
	v_fmac_f16_e32 v25, 0x34f2, v13
	v_mul_f16_e32 v3, 0x34f2, v11
	v_mul_f16_e32 v13, 0xbb9c, v21
	v_fmac_f16_e32 v2, 0x38b4, v9
	v_mul_f16_e32 v19, 0x3b9c, v14
	v_fmac_f16_e32 v7, 0x3a79, v9
	;; [unrolled: 2-line block ×3, first 2 shown]
	v_fmac_f16_e32 v4, 0x38b4, v23
	v_fma_f16 v6, v5, 0x38b4, -v6
	v_mul_f16_e32 v5, 0x3a79, v5
	v_fmac_f16_e32 v28, 0x34f2, v16
	v_fmac_f16_e32 v29, 0x34f2, v17
	;; [unrolled: 1-line block ×4, first 2 shown]
	v_fma_f16 v3, v37, 0x3b9c, -v3
	v_fmac_f16_e32 v13, 0x34f2, v14
	v_fmac_f16_e32 v19, 0x34f2, v21
	v_fma_f16 v9, v11, 0xbb9c, -v9
	v_fmac_f16_e32 v1, 0x34f2, v16
	v_fmac_f16_e32 v4, 0x34f2, v18
	v_fma_f16 v5, v15, 0xb8b4, -v5
	v_add_f16_e32 v14, v28, v2
	v_add_f16_e32 v18, v10, v3
	v_add_f16_e32 v35, v8, v7
	v_add_f16_e32 v37, v33, v13
	v_add_f16_e32 v17, v29, v19
	v_add_f16_e32 v84, v25, v9
	v_add_f16_e32 v21, v1, v6
	v_sub_f16_e32 v23, v28, v2
	v_sub_f16_e32 v83, v8, v7
	;; [unrolled: 1-line block ×3, first 2 shown]
	v_add_f16_e32 v82, v4, v5
	v_sub_f16_e32 v24, v29, v19
	v_sub_f16_e32 v15, v10, v3
	;; [unrolled: 1-line block ×5, first 2 shown]
	v_pack_b32_f16 v13, v14, v35
	v_pack_b32_f16 v4, v18, v84
	;; [unrolled: 1-line block ×8, first 2 shown]
	ds_store_2addr_b64 v31, v[12:13], v[3:4] offset1:1
	ds_store_2addr_b64 v31, v[25:26], v[1:2] offset0:2 offset1:3
	ds_store_b64 v31, v[5:6] offset:32
	global_wb scope:SCOPE_SE
	s_wait_dscnt 0x0
	s_barrier_signal -1
	s_barrier_wait -1
	global_inv scope:SCOPE_SE
                                        ; implicit-def: $vgpr27
                                        ; implicit-def: $vgpr25
                                        ; implicit-def: $vgpr36
	s_and_saveexec_b32 s0, vcc_lo
	s_cbranch_execz .LBB0_3
; %bb.2:
	ds_load_2addr_b32 v[13:14], v61 offset1:140
	v_add_nc_u32_e32 v1, 0x400, v61
	v_add_nc_u32_e32 v2, 0x800, v61
	ds_load_2addr_b32 v[15:16], v0 offset0:96 offset1:236
	v_add_nc_u32_e32 v0, 0xc00, v61
	s_wait_dscnt 0x1
	v_mov_b32_e32 v12, v13
	ds_load_b32 v25, v61 offset:6720
	ds_load_2addr_b32 v[17:18], v1 offset0:24 offset1:164
	v_add_nc_u32_e32 v1, 0x1500, v61
	ds_load_2addr_b32 v[21:22], v2 offset0:48 offset1:188
	ds_load_2addr_b32 v[23:24], v0 offset0:72 offset1:212
	;; [unrolled: 1-line block ×3, first 2 shown]
	v_lshrrev_b32_e32 v35, 16, v14
	s_wait_dscnt 0x5
	v_lshrrev_b32_e32 v34, 16, v15
	v_lshrrev_b32_e32 v33, 16, v16
	s_wait_dscnt 0x4
	v_lshrrev_b32_e32 v36, 16, v25
	s_wait_dscnt 0x3
	v_lshrrev_b32_e32 v37, 16, v17
	v_lshrrev_b32_e32 v84, 16, v18
	s_wait_dscnt 0x2
	v_mov_b32_e32 v26, v22
	v_lshrrev_b32_e32 v82, 16, v21
	s_wait_dscnt 0x1
	v_lshrrev_b32_e32 v83, 16, v23
	v_lshrrev_b32_e32 v81, 16, v24
	s_wait_dscnt 0x0
	v_lshrrev_b32_e32 v86, 16, v27
	v_lshrrev_b32_e32 v88, 16, v28
.LBB0_3:
	s_wait_alu 0xfffe
	s_or_b32 exec_lo, exec_lo, s0
	v_and_b32_e32 v0, 0xff, v55
	v_lshrrev_b32_e32 v91, 16, v26
	v_lshrrev_b32_e32 v19, 16, v12
	s_delay_alu instid0(VALU_DEP_3) | instskip(NEXT) | instid1(VALU_DEP_1)
	v_mul_lo_u16 v0, 0xcd, v0
	v_lshrrev_b16 v64, 11, v0
	s_delay_alu instid0(VALU_DEP_1) | instskip(SKIP_1) | instid1(VALU_DEP_2)
	v_mul_lo_u16 v0, v64, 10
	v_and_b32_e32 v64, 0xffff, v64
	v_sub_nc_u16 v0, v55, v0
	s_delay_alu instid0(VALU_DEP_1) | instskip(NEXT) | instid1(VALU_DEP_1)
	v_and_b32_e32 v63, 0xff, v0
	v_mul_u32_u24_e32 v0, 12, v63
	s_delay_alu instid0(VALU_DEP_1)
	v_lshlrev_b32_e32 v0, 2, v0
	s_clause 0x2
	global_load_b128 v[4:7], v0, s[10:11]
	global_load_b128 v[8:11], v0, s[10:11] offset:16
	global_load_b128 v[0:3], v0, s[10:11] offset:32
	global_wb scope:SCOPE_SE
	s_wait_loadcnt 0x0
	s_barrier_signal -1
	s_barrier_wait -1
	global_inv scope:SCOPE_SE
	v_lshrrev_b32_e32 v76, 16, v4
	v_lshrrev_b32_e32 v75, 16, v5
	;; [unrolled: 1-line block ×10, first 2 shown]
	v_mul_f16_e32 v85, v35, v76
	v_mul_f16_e32 v80, v14, v76
	;; [unrolled: 1-line block ×4, first 2 shown]
	v_lshrrev_b32_e32 v71, 16, v9
	v_lshrrev_b32_e32 v70, 16, v10
	v_mul_f16_e32 v87, v37, v75
	v_mul_f16_e32 v79, v17, v75
	;; [unrolled: 1-line block ×14, first 2 shown]
	v_fma_f16 v90, v14, v4, -v85
	v_fmac_f16_e32 v80, v35, v4
	v_fma_f16 v14, v25, v3, -v101
	v_fmac_f16_e32 v13, v36, v3
	v_mul_f16_e32 v40, v26, v72
	v_mul_f16_e32 v95, v83, v71
	v_mul_f16_e32 v39, v23, v71
	v_mul_f16_e32 v96, v81, v70
	v_mul_f16_e32 v38, v24, v70
	v_mul_f16_e32 v32, v15, v69
	v_fma_f16 v89, v17, v5, -v87
	v_fmac_f16_e32 v79, v37, v5
	v_fma_f16 v87, v18, v6, -v92
	v_fmac_f16_e32 v78, v84, v6
	;; [unrolled: 2-line block ×3, first 2 shown]
	v_fma_f16 v82, v26, v8, -v94
	v_fma_f16 v18, v15, v11, -v97
	;; [unrolled: 1-line block ×3, first 2 shown]
	v_fmac_f16_e32 v30, v33, v0
	v_fma_f16 v16, v27, v1, -v99
	v_fmac_f16_e32 v29, v86, v1
	v_fma_f16 v15, v28, v2, -v100
	v_fmac_f16_e32 v22, v88, v2
	v_sub_f16_e32 v25, v90, v14
	v_sub_f16_e32 v26, v80, v13
	v_fmac_f16_e32 v40, v91, v8
	v_fma_f16 v23, v23, v9, -v95
	v_fmac_f16_e32 v39, v83, v9
	v_fma_f16 v21, v24, v10, -v96
	v_fmac_f16_e32 v38, v81, v10
	v_fmac_f16_e32 v32, v34, v11
	v_add_f16_e32 v99, v90, v14
	v_add_f16_e32 v100, v80, v13
	v_sub_f16_e32 v33, v89, v15
	v_sub_f16_e32 v34, v79, v22
	;; [unrolled: 1-line block ×6, first 2 shown]
	v_mul_f16_e32 v24, 0xb770, v26
	v_mul_f16_e32 v28, 0xb770, v25
	;; [unrolled: 1-line block ×6, first 2 shown]
	v_mul_f16_e64 v130, 0xbb7b, v26
	v_mul_f16_e64 v138, 0xbb7b, v25
	;; [unrolled: 1-line block ×6, first 2 shown]
	v_add_f16_e32 v102, v89, v15
	v_add_f16_e32 v103, v79, v22
	v_sub_f16_e32 v83, v40, v32
	v_sub_f16_e32 v84, v82, v18
	;; [unrolled: 1-line block ×4, first 2 shown]
	v_mul_f16_e32 v27, 0xba95, v34
	v_mul_f16_e32 v91, 0xba95, v33
	;; [unrolled: 1-line block ×6, first 2 shown]
	v_mul_f16_e64 v132, 0x394e, v34
	v_mul_f16_e64 v139, 0x394e, v33
	;; [unrolled: 1-line block ×6, first 2 shown]
	v_mul_f16_e32 v92, 0xbbf1, v35
	v_mul_f16_e32 v93, 0xbbf1, v36
	v_mul_f16_e32 v111, 0xb3a8, v35
	v_mul_f16_e32 v113, 0xb3a8, v36
	v_mul_f16_e32 v118, 0x3b7b, v35
	v_mul_f16_e64 v128, 0x3b7b, v36
	v_mul_f16_e64 v131, 0x3770, v35
	;; [unrolled: 1-line block ×7, first 2 shown]
	v_mul_f16_e32 v94, 0xbb7b, v37
	v_mul_f16_e32 v95, 0xbb7b, v81
	;; [unrolled: 1-line block ×6, first 2 shown]
	v_mul_f16_e64 v134, 0xbbf1, v37
	v_mul_f16_e64 v141, 0xbbf1, v81
	;; [unrolled: 1-line block ×6, first 2 shown]
	v_fmamk_f16 v25, v99, 0x3b15, v24
	v_fma_f16 v26, v100, 0x3b15, -v28
	v_fmamk_f16 v33, v99, 0x388b, v107
	v_fma_f16 v34, v100, 0x388b, -v112
	;; [unrolled: 2-line block ×3, first 2 shown]
	v_fma_f16 v37, 0xb5ac, v99, v130
	v_fma_f16 v81, v100, 0xb5ac, -v138
	v_fma_f16 v175, 0xb9fd, v99, v143
	v_fma_f16 v178, v100, 0xb9fd, -v153
	;; [unrolled: 2-line block ×3, first 2 shown]
	v_add_f16_e32 v122, v87, v16
	v_add_f16_e32 v123, v78, v29
	v_mul_f16_e32 v96, 0xb94e, v83
	v_mul_f16_e32 v97, 0xb94e, v84
	;; [unrolled: 1-line block ×5, first 2 shown]
	v_mul_f16_e64 v129, 0xba95, v84
	v_mul_f16_e64 v133, 0x33a8, v83
	;; [unrolled: 1-line block ×7, first 2 shown]
	v_mul_f16_e32 v98, 0xb3a8, v86
	v_mul_f16_e32 v101, 0xb3a8, v88
	;; [unrolled: 1-line block ×6, first 2 shown]
	v_mul_f16_e64 v135, 0x3a95, v86
	v_mul_f16_e64 v146, 0x3a95, v88
	;; [unrolled: 1-line block ×6, first 2 shown]
	v_fmamk_f16 v83, v102, 0x388b, v27
	v_fma_f16 v84, v103, 0x388b, -v91
	v_fmamk_f16 v86, v102, 0xb5ac, v110
	v_fma_f16 v88, v103, 0xb5ac, -v114
	v_fma_f16 v172, 0xbbc4, v102, v119
	v_fma_f16 v173, v103, 0xbbc4, -v125
	v_fma_f16 v174, 0xb9fd, v102, v132
	;; [unrolled: 2-line block ×4, first 2 shown]
	v_fma_f16 v183, v103, 0x3b15, -v166
	v_add_f16_e32 v25, v12, v25
	v_add_f16_e32 v26, v19, v26
	;; [unrolled: 1-line block ×8, first 2 shown]
	v_add_f16_e64 v175, v12, v175
	v_add_f16_e64 v178, v19, v178
	v_add_f16_e64 v180, v12, v180
	v_add_f16_e64 v182, v19, v182
	v_add_f16_e64 v136, v85, v17
	v_add_f16_e64 v137, v77, v30
	v_fma_f16 v184, 0x2fb7, v122, v92
	v_fma_f16 v185, v123, 0x2fb7, -v93
	v_fma_f16 v186, 0xbbc4, v122, v111
	v_fma_f16 v187, v123, 0xbbc4, -v113
	;; [unrolled: 2-line block ×6, first 2 shown]
	v_add_f16_e32 v25, v83, v25
	v_add_f16_e32 v26, v84, v26
	;; [unrolled: 1-line block ×4, first 2 shown]
	v_add_f16_e64 v35, v172, v35
	v_add_f16_e64 v36, v173, v36
	;; [unrolled: 1-line block ×10, first 2 shown]
	v_fma_f16 v196, 0xb5ac, v136, v94
	v_fma_f16 v197, v137, 0xb5ac, -v95
	v_fma_f16 v198, 0xb9fd, v136, v104
	v_fma_f16 v199, v137, 0xb9fd, -v115
	;; [unrolled: 2-line block ×6, first 2 shown]
	v_add_f16_e64 v25, v184, v25
	v_add_f16_e64 v26, v185, v26
	;; [unrolled: 1-line block ×14, first 2 shown]
	v_fma_f16 v208, 0xb9fd, v149, v96
	v_fma_f16 v209, v151, 0xb9fd, -v97
	v_fma_f16 v210, 0x2fb7, v149, v105
	v_fma_f16 v211, v151, 0x2fb7, -v116
	;; [unrolled: 2-line block ×6, first 2 shown]
	v_add_f16_e64 v25, v196, v25
	v_add_f16_e64 v26, v197, v26
	;; [unrolled: 1-line block ×12, first 2 shown]
	v_fma_f16 v220, 0xbbc4, v152, v98
	v_fma_f16 v221, v154, 0xbbc4, -v101
	v_fma_f16 v222, 0x3b15, v152, v106
	v_fma_f16 v223, v154, 0x3b15, -v109
	;; [unrolled: 2-line block ×6, first 2 shown]
	v_add_f16_e64 v25, v208, v25
	v_add_f16_e64 v26, v209, v26
	;; [unrolled: 1-line block ×24, first 2 shown]
	s_and_saveexec_b32 s0, vcc_lo
	s_cbranch_execz .LBB0_5
; %bb.4:
	v_mul_f16_e64 v172, 0x3b15, v99
	v_mul_f16_e64 v173, 0x3b15, v100
	;; [unrolled: 1-line block ×10, first 2 shown]
	v_mul_f16_e32 v99, 0xbbc4, v99
	v_mul_f16_e32 v100, 0xbbc4, v100
	v_mul_f16_e64 v182, 0x388b, v102
	v_mul_f16_e64 v183, 0x388b, v103
	;; [unrolled: 1-line block ×10, first 2 shown]
	v_mul_f16_e32 v102, 0x3b15, v102
	v_mul_f16_e32 v103, 0x3b15, v103
	v_add_f16_e64 v100, v168, v100
	v_sub_f16_e64 v99, v99, v163
	v_mul_f16_e64 v192, 0x2fb7, v122
	v_mul_f16_e64 v193, 0x2fb7, v123
	;; [unrolled: 1-line block ×10, first 2 shown]
	v_mul_f16_e32 v122, 0xb9fd, v122
	v_mul_f16_e32 v123, 0xb9fd, v123
	v_add_f16_e32 v100, v19, v100
	v_add_f16_e64 v103, v166, v103
	v_add_f16_e32 v99, v12, v99
	v_sub_f16_e64 v102, v102, v160
	v_mul_f16_e64 v202, 0xb5ac, v136
	v_mul_f16_e64 v203, 0xb5ac, v137
	;; [unrolled: 1-line block ×12, first 2 shown]
	v_add_f16_e32 v100, v103, v100
	v_add_f16_e64 v103, v170, v123
	v_add_f16_e32 v99, v102, v99
	v_sub_f16_e64 v102, v122, v159
	v_add_f16_e32 v90, v12, v90
	v_add_f16_e32 v80, v19, v80
	v_mul_f16_e64 v212, 0xb9fd, v149
	v_mul_f16_e64 v213, 0xb9fd, v151
	v_mul_f16_e64 v214, 0x2fb7, v149
	v_mul_f16_e64 v215, 0x2fb7, v151
	v_mul_f16_e64 v216, 0x388b, v149
	v_mul_f16_e64 v217, 0x388b, v151
	v_mul_f16_e64 v218, 0xbbc4, v149
	v_mul_f16_e64 v219, 0xbbc4, v151
	v_mul_f16_e64 v220, 0x3b15, v149
	v_mul_f16_e64 v221, 0x3b15, v151
	v_mul_f16_e64 v149, 0xb5ac, v149
	v_mul_f16_e64 v151, 0xb5ac, v151
	v_add_f16_e32 v100, v103, v100
	v_add_f16_e64 v103, v169, v137
	v_add_f16_e32 v99, v102, v99
	v_sub_f16_e64 v102, v136, v162
	v_add_f16_e32 v89, v90, v89
	v_add_f16_e32 v79, v80, v79
	v_mul_f16_e64 v137, 0x2fb7, v154
	v_add_f16_e32 v100, v103, v100
	v_add_f16_e64 v103, v167, v151
	v_add_f16_e32 v99, v102, v99
	v_sub_f16_e64 v102, v149, v161
	v_add_f16_e32 v87, v89, v87
	v_add_f16_e32 v78, v79, v78
	v_add_f16_e64 v153, v153, v181
	v_add_f16_e32 v100, v103, v100
	v_add_f16_e64 v103, v171, v137
	;; [unrolled: 2-line block ×3, first 2 shown]
	v_add_f16_e64 v124, v124, v177
	v_add_f16_e64 v112, v112, v175
	v_add_f16_e32 v85, v87, v85
	v_add_f16_e64 v28, v28, v173
	v_add_f16_e32 v77, v78, v77
	;; [unrolled: 2-line block ×3, first 2 shown]
	v_sub_f16_e64 v103, v180, v143
	v_add_f16_e32 v102, v19, v102
	v_sub_f16_e64 v130, v178, v130
	v_add_f16_e32 v124, v19, v124
	;; [unrolled: 2-line block ×3, first 2 shown]
	v_sub_f16_e64 v107, v174, v107
	v_sub_f16_e64 v24, v172, v24
	v_add_f16_e32 v82, v85, v82
	v_add_f16_e32 v19, v19, v28
	;; [unrolled: 1-line block ×3, first 2 shown]
	v_add_f16_e64 v151, v155, v191
	v_add_f16_e32 v103, v12, v103
	v_add_f16_e64 v130, v12, v130
	v_add_f16_e32 v117, v12, v117
	v_add_f16_e32 v107, v12, v107
	v_add_f16_e64 v40, v91, v183
	v_add_f16_e32 v12, v12, v24
	v_add_f16_e32 v23, v82, v23
	v_sub_f16_e64 v24, v182, v27
	v_add_f16_e32 v27, v28, v39
	v_add_f16_e64 v122, v151, v122
	v_add_f16_e64 v136, v158, v201
	v_sub_f16_e64 v137, v190, v145
	v_add_f16_e64 v125, v125, v187
	v_sub_f16_e64 v119, v186, v119
	;; [unrolled: 2-line block ×3, first 2 shown]
	v_add_f16_e32 v19, v40, v19
	v_add_f16_e64 v28, v93, v193
	v_add_f16_e32 v21, v23, v21
	v_add_f16_e32 v23, v27, v38
	v_add_f16_e64 v122, v136, v122
	v_add_f16_e64 v136, v157, v211
	;; [unrolled: 1-line block ×3, first 2 shown]
	v_sub_f16_e64 v137, v200, v144
	v_add_f16_e64 v138, v139, v189
	v_sub_f16_e64 v132, v188, v132
	v_add_f16_e32 v124, v125, v124
	v_add_f16_e64 v125, v128, v197
	v_add_f16_e32 v117, v119, v117
	v_sub_f16_e64 v118, v196, v118
	v_add_f16_e32 v112, v114, v112
	v_add_f16_e64 v113, v113, v195
	v_add_f16_e32 v107, v110, v107
	v_sub_f16_e64 v110, v194, v111
	v_add_f16_e32 v12, v24, v12
	v_sub_f16_e64 v24, v192, v92
	v_add_f16_e32 v19, v28, v19
	v_add_f16_e32 v18, v21, v18
	v_add_f16_e64 v21, v95, v203
	v_add_f16_e32 v23, v23, v32
	v_add_f16_e64 v122, v136, v122
	v_add_f16_e64 v136, v156, v221
	;; [unrolled: 1-line block ×6, first 2 shown]
	v_sub_f16_e64 v131, v198, v131
	v_add_f16_e32 v124, v125, v124
	v_add_f16_e64 v125, v127, v207
	v_add_f16_e32 v117, v118, v117
	v_sub_f16_e64 v118, v206, v121
	v_add_f16_e32 v112, v113, v112
	v_add_f16_e64 v113, v115, v205
	v_add_f16_e32 v107, v110, v107
	v_sub_f16_e64 v104, v204, v104
	v_add_f16_e32 v12, v24, v12
	v_sub_f16_e64 v24, v202, v94
	v_add_f16_e32 v17, v18, v17
	v_add_f16_e32 v18, v21, v19
	;; [unrolled: 1-line block ×3, first 2 shown]
	v_mul_f16_e64 v168, 0xbbc4, v152
	v_mul_f16_e64 v222, 0xbbc4, v154
	;; [unrolled: 1-line block ×6, first 2 shown]
	v_add_f16_e64 v122, v136, v122
	v_sub_f16_e64 v136, v210, v148
	v_add_f16_e64 v102, v137, v102
	v_add_f16_e64 v137, v141, v209
	v_add_f16_e64 v130, v131, v130
	v_sub_f16_e64 v131, v208, v134
	v_add_f16_e32 v124, v125, v124
	v_add_f16_e64 v125, v129, v217
	v_add_f16_e32 v114, v118, v117
	v_sub_f16_e64 v117, v216, v120
	v_add_f16_e32 v112, v113, v112
	v_add_f16_e64 v113, v116, v215
	v_add_f16_e32 v80, v104, v107
	v_sub_f16_e64 v104, v214, v105
	v_add_f16_e64 v21, v97, v213
	v_add_f16_e32 v12, v24, v12
	v_add_f16_e32 v16, v17, v16
	v_sub_f16_e64 v17, v212, v96
	v_add_f16_e32 v19, v19, v29
	v_mul_f16_e64 v226, 0x388b, v152
	v_mul_f16_e64 v227, 0x388b, v154
	v_mul_f16_e64 v123, 0xb5ac, v152
	v_mul_f16_e64 v163, 0xb5ac, v154
	v_add_f16_e64 v103, v136, v103
	v_sub_f16_e64 v136, v220, v147
	v_add_f16_e64 v102, v137, v102
	v_add_f16_e64 v132, v140, v219
	;; [unrolled: 1-line block ×3, first 2 shown]
	v_sub_f16_e64 v131, v218, v133
	v_add_f16_e32 v124, v125, v124
	v_add_f16_e64 v121, v126, v225
	v_add_f16_e32 v111, v117, v114
	v_add_f16_e32 v110, v113, v112
	v_add_f16_e64 v90, v109, v224
	v_sub_f16_e64 v89, v166, v108
	v_add_f16_e32 v80, v104, v80
	v_sub_f16_e64 v78, v223, v106
	v_add_f16_e32 v18, v21, v18
	v_add_f16_e64 v21, v101, v222
	v_add_f16_e32 v15, v16, v15
	v_add_f16_e32 v12, v17, v12
	;; [unrolled: 1-line block ×3, first 2 shown]
	v_sub_f16_e64 v17, v168, v98
	v_mul_f16_e64 v152, 0x2fb7, v152
	v_add_f16_e64 v138, v164, v163
	v_add_f16_e64 v103, v136, v103
	v_sub_f16_e64 v123, v123, v150
	v_add_f16_e64 v102, v132, v102
	v_add_f16_e64 v128, v146, v227
	;; [unrolled: 1-line block ×3, first 2 shown]
	v_sub_f16_e64 v119, v226, v135
	v_add_f16_e32 v115, v121, v124
	v_add_f16_e32 v79, v90, v110
	;; [unrolled: 1-line block ×4, first 2 shown]
	v_mul_u32_u24_e32 v15, 0x82, v64
	v_add_f16_e32 v13, v16, v13
	v_add_f16_e32 v12, v17, v12
	;; [unrolled: 1-line block ×4, first 2 shown]
	v_sub_f16_e64 v139, v152, v165
	v_add_f16_e64 v122, v138, v122
	v_add_f16_e64 v102, v128, v102
	v_add_lshl_u32 v15, v15, v63, 2
	v_pack_b32_f16 v13, v14, v13
	v_pack_b32_f16 v12, v12, v18
	;; [unrolled: 1-line block ×4, first 2 shown]
	v_add_f16_e32 v17, v119, v127
	v_add_f16_e32 v18, v123, v103
	v_add_f16_e64 v19, v139, v99
	ds_store_2addr_b32 v15, v13, v12 offset1:10
	ds_store_2addr_b32 v15, v14, v16 offset0:20 offset1:30
	v_perm_b32 v16, v26, v25, 0x5040100
	v_pack_b32_f16 v12, v17, v102
	v_pack_b32_f16 v13, v18, v122
	;; [unrolled: 1-line block ×3, first 2 shown]
	v_perm_b32 v17, v88, v37, 0x5040100
	v_perm_b32 v18, v86, v36, 0x5040100
	;; [unrolled: 1-line block ×5, first 2 shown]
	ds_store_2addr_b32 v15, v12, v13 offset0:40 offset1:50
	ds_store_2addr_b32 v15, v14, v16 offset0:60 offset1:70
	;; [unrolled: 1-line block ×4, first 2 shown]
	ds_store_b32 v15, v22 offset:480
.LBB0_5:
	s_wait_alu 0xfffe
	s_or_b32 exec_lo, exec_lo, s0
	global_wb scope:SCOPE_SE
	s_wait_dscnt 0x0
	s_barrier_signal -1
	s_barrier_wait -1
	global_inv scope:SCOPE_SE
	ds_load_b32 v29, v61
	ds_load_b32 v80, v61 offset:1040
	ds_load_b32 v79, v61 offset:2080
	ds_load_b32 v40, v61 offset:3120
	ds_load_b32 v39, v61 offset:4160
	ds_load_b32 v38, v61 offset:5200
	ds_load_b32 v78, v61 offset:6240
	v_add_co_u32 v27, s0, s8, v61
	s_wait_alu 0xf1ff
	v_add_co_ci_u32_e64 v28, null, s9, 0, s0
	v_cmp_gt_u16_e64 s0, 0x4e, v55
                                        ; implicit-def: $vgpr30
                                        ; implicit-def: $vgpr32
	s_delay_alu instid0(VALU_DEP_1)
	s_and_saveexec_b32 s1, s0
	s_cbranch_execz .LBB0_7
; %bb.6:
	ds_load_b32 v25, v61 offset:728
	ds_load_b32 v37, v61 offset:1768
	;; [unrolled: 1-line block ×7, first 2 shown]
	s_wait_dscnt 0x6
	v_lshrrev_b32_e32 v26, 16, v25
	s_wait_dscnt 0x5
	v_lshrrev_b32_e32 v88, 16, v37
	;; [unrolled: 2-line block ×7, first 2 shown]
.LBB0_7:
	s_wait_alu 0xfffe
	s_or_b32 exec_lo, exec_lo, s1
	v_add_nc_u32_e32 v12, 0xffffff7e, v55
	v_cmp_gt_u16_e64 s1, 0x82, v55
	s_wait_dscnt 0x5
	v_lshrrev_b32_e32 v85, 16, v80
	s_wait_dscnt 0x4
	v_lshrrev_b32_e32 v87, 16, v79
	;; [unrolled: 2-line block ×4, first 2 shown]
	s_wait_alu 0xf1ff
	v_cndmask_b32_e64 v77, v12, v55, s1
	v_lshrrev_b32_e32 v91, 16, v39
	v_lshrrev_b32_e32 v90, 16, v29
	s_delay_alu instid0(VALU_DEP_3) | instskip(SKIP_1) | instid1(VALU_DEP_2)
	v_mul_i32_i24_e32 v12, 24, v77
	v_mul_hi_i32_i24_e32 v13, 24, v77
	v_add_co_u32 v12, s1, s10, v12
	s_wait_alu 0xf1ff
	s_delay_alu instid0(VALU_DEP_2) | instskip(SKIP_4) | instid1(VALU_DEP_1)
	v_add_co_ci_u32_e64 v13, s1, s11, v13, s1
	s_clause 0x1
	global_load_b128 v[16:19], v[12:13], off offset:480
	global_load_b64 v[23:24], v[12:13], off offset:496
	v_add_nc_u32_e32 v12, 0xb6, v55
	v_and_b32_e32 v13, 0xffff, v12
	s_delay_alu instid0(VALU_DEP_1) | instskip(NEXT) | instid1(VALU_DEP_1)
	v_mul_u32_u24_e32 v13, 0xfc1, v13
	v_lshrrev_b32_e32 v13, 19, v13
	s_delay_alu instid0(VALU_DEP_1) | instskip(NEXT) | instid1(VALU_DEP_1)
	v_mul_lo_u16 v13, 0x82, v13
	v_sub_nc_u16 v89, v12, v13
	s_delay_alu instid0(VALU_DEP_1) | instskip(SKIP_1) | instid1(VALU_DEP_2)
	v_mul_lo_u16 v12, v89, 24
	v_and_b32_e32 v89, 0xffff, v89
	v_and_b32_e32 v12, 0xffff, v12
	s_delay_alu instid0(VALU_DEP_1)
	v_add_co_u32 v21, s1, s10, v12
	s_wait_alu 0xf1ff
	v_add_co_ci_u32_e64 v22, null, s11, 0, s1
	v_cmp_lt_u16_e64 s1, 0x81, v55
	s_clause 0x1
	global_load_b128 v[12:15], v[21:22], off offset:480
	global_load_b64 v[21:22], v[21:22], off offset:496
	global_wb scope:SCOPE_SE
	s_wait_loadcnt 0x0
	s_wait_alu 0xf1ff
	v_cndmask_b32_e64 v82, 0, 0x38e, s1
	s_barrier_signal -1
	s_barrier_wait -1
	global_inv scope:SCOPE_SE
	v_add_lshl_u32 v77, v77, v82, 2
	v_lshrrev_b32_e32 v82, 16, v40
	s_delay_alu instid0(VALU_DEP_2)
	v_add_nc_u32_e32 v94, 0x400, v77
	v_add_nc_u32_e32 v107, 0x800, v77
	v_lshrrev_b32_e32 v100, 16, v16
	v_lshrrev_b32_e32 v99, 16, v17
	v_lshrrev_b32_e32 v95, 16, v23
	v_lshrrev_b32_e32 v97, 16, v24
	v_lshrrev_b32_e32 v98, 16, v18
	v_lshrrev_b32_e32 v96, 16, v19
	v_mul_f16_e32 v101, v85, v100
	v_mul_f16_e32 v102, v80, v100
	;; [unrolled: 1-line block ×12, first 2 shown]
	v_fma_f16 v80, v80, v16, -v101
	v_fmac_f16_e32 v102, v85, v16
	v_fma_f16 v79, v79, v17, -v103
	v_fmac_f16_e32 v104, v87, v17
	;; [unrolled: 2-line block ×6, first 2 shown]
	v_add_f16_e32 v82, v80, v78
	v_add_f16_e32 v85, v102, v113
	v_sub_f16_e32 v91, v80, v78
	v_add_f16_e32 v78, v79, v38
	v_add_f16_e32 v80, v104, v111
	v_sub_f16_e32 v92, v102, v113
	v_sub_f16_e32 v38, v79, v38
	;; [unrolled: 1-line block ×3, first 2 shown]
	v_add_f16_e32 v93, v40, v39
	v_add_f16_e32 v101, v106, v109
	v_sub_f16_e32 v39, v39, v40
	v_sub_f16_e32 v40, v109, v106
	v_add_f16_e32 v102, v78, v82
	v_add_f16_e32 v103, v80, v85
	v_sub_f16_e32 v104, v78, v82
	v_sub_f16_e32 v105, v80, v85
	;; [unrolled: 1-line block ×6, first 2 shown]
	v_add_f16_e32 v111, v39, v38
	v_add_f16_e32 v112, v40, v79
	v_sub_f16_e32 v113, v39, v38
	v_sub_f16_e32 v114, v40, v79
	;; [unrolled: 1-line block ×4, first 2 shown]
	v_lshrrev_b32_e32 v85, 16, v12
	v_lshrrev_b32_e32 v80, 16, v13
	;; [unrolled: 1-line block ×4, first 2 shown]
	v_add_f16_e32 v93, v93, v102
	v_add_f16_e32 v101, v101, v103
	v_sub_f16_e32 v39, v91, v39
	v_sub_f16_e32 v40, v92, v40
	v_lshrrev_b32_e32 v78, 16, v14
	v_lshrrev_b32_e32 v79, 16, v15
	v_add_f16_e32 v91, v111, v91
	v_add_f16_e32 v92, v112, v92
	v_mul_f16_e32 v102, 0x3a52, v106
	v_mul_f16_e32 v103, 0x3a52, v108
	v_mul_f16_e32 v106, 0x2b26, v109
	v_mul_f16_e32 v108, 0x2b26, v110
	v_mul_f16_e32 v111, 0xb846, v113
	v_mul_f16_e32 v112, 0xb846, v114
	v_mul_f16_e32 v113, 0x3b00, v38
	v_mul_f16_e32 v114, 0x3b00, v115
	v_mul_f16_e32 v116, v88, v85
	v_mul_f16_e32 v117, v37, v85
	v_mul_f16_e32 v118, v86, v80
	v_mul_f16_e32 v119, v36, v80
	v_mul_f16_e32 v124, v81, v82
	v_mul_f16_e32 v125, v34, v82
	v_mul_f16_e32 v126, v32, v87
	v_mul_f16_e32 v127, v30, v87
	v_add_f16_e32 v29, v29, v93
	v_add_f16_e32 v90, v90, v101
	v_mul_f16_e32 v120, v84, v78
	v_mul_f16_e32 v121, v33, v78
	;; [unrolled: 1-line block ×4, first 2 shown]
	v_fmamk_f16 v109, v109, 0x2b26, v102
	v_fmamk_f16 v110, v110, 0x2b26, v103
	v_fma_f16 v106, v104, 0x39e0, -v106
	v_fma_f16 v108, v105, 0x39e0, -v108
	;; [unrolled: 1-line block ×4, first 2 shown]
	v_fmamk_f16 v104, v39, 0x3574, v111
	v_fmamk_f16 v105, v40, 0x3574, v112
	v_fma_f16 v38, v38, 0x3b00, -v111
	v_fma_f16 v111, v115, 0x3b00, -v112
	;; [unrolled: 1-line block ×5, first 2 shown]
	v_fmac_f16_e32 v117, v88, v12
	v_fma_f16 v36, v36, v13, -v118
	v_fmac_f16_e32 v119, v86, v13
	v_fma_f16 v34, v34, v21, -v124
	;; [unrolled: 2-line block ×3, first 2 shown]
	v_fmac_f16_e32 v127, v32, v22
	v_fmamk_f16 v32, v93, 0xbcab, v29
	v_fmamk_f16 v81, v101, 0xbcab, v90
	v_fma_f16 v33, v33, v14, -v120
	v_fmac_f16_e32 v121, v84, v14
	v_fma_f16 v35, v35, v15, -v122
	v_fmac_f16_e32 v123, v83, v15
	v_fmac_f16_e32 v104, 0x370e, v91
	;; [unrolled: 1-line block ×7, first 2 shown]
	v_pack_b32_f16 v83, v29, v90
	v_add_f16_e32 v29, v109, v32
	v_add_f16_e32 v84, v110, v81
	;; [unrolled: 1-line block ×10, first 2 shown]
	v_sub_f16_e32 v30, v37, v30
	v_sub_f16_e32 v37, v117, v127
	v_sub_f16_e32 v34, v36, v34
	v_sub_f16_e32 v36, v119, v125
	v_add_f16_e32 v101, v33, v35
	v_add_f16_e32 v102, v121, v123
	v_sub_f16_e32 v33, v35, v33
	v_sub_f16_e32 v35, v123, v121
	;; [unrolled: 1-line block ×3, first 2 shown]
	v_add_f16_e32 v108, v40, v32
	v_sub_f16_e32 v109, v81, v39
	v_sub_f16_e32 v32, v32, v40
	v_add_f16_e32 v39, v39, v81
	v_add_f16_e32 v40, v104, v84
	;; [unrolled: 1-line block ×5, first 2 shown]
	v_sub_f16_e32 v110, v86, v111
	v_add_f16_e32 v112, v38, v88
	v_add_f16_e32 v86, v111, v86
	v_sub_f16_e32 v38, v88, v38
	v_sub_f16_e32 v29, v29, v105
	;; [unrolled: 1-line block ×8, first 2 shown]
	v_add_f16_e32 v105, v33, v34
	v_add_f16_e32 v111, v35, v36
	v_sub_f16_e32 v113, v33, v34
	v_sub_f16_e32 v114, v35, v36
	;; [unrolled: 1-line block ×5, first 2 shown]
	v_add_f16_e32 v36, v101, v81
	v_add_f16_e32 v81, v102, v84
	v_sub_f16_e32 v115, v30, v33
	v_add_f16_e32 v84, v105, v30
	v_add_f16_e32 v37, v111, v37
	v_mul_f16_e32 v33, 0x3a52, v90
	v_mul_f16_e32 v90, 0x3a52, v91
	;; [unrolled: 1-line block ×8, first 2 shown]
	v_pack_b32_f16 v40, v29, v40
	v_add_f16_e32 v29, v25, v36
	v_add_f16_e32 v30, v26, v81
	v_pack_b32_f16 v108, v108, v109
	v_pack_b32_f16 v109, v110, v112
	;; [unrolled: 1-line block ×4, first 2 shown]
	v_fmamk_f16 v25, v92, 0x2b26, v33
	v_fmamk_f16 v26, v93, 0x2b26, v90
	v_fma_f16 v38, v88, 0x39e0, -v91
	v_fma_f16 v39, v104, 0x39e0, -v101
	;; [unrolled: 1-line block ×4, first 2 shown]
	v_fmamk_f16 v32, v115, 0x3574, v102
	v_fmamk_f16 v33, v116, 0x3574, v105
	v_fma_f16 v91, v34, 0x3b00, -v102
	v_fma_f16 v92, v35, 0x3b00, -v105
	;; [unrolled: 1-line block ×4, first 2 shown]
	v_fmamk_f16 v93, v36, 0xbcab, v29
	v_fmamk_f16 v81, v81, 0xbcab, v30
	v_fmac_f16_e32 v32, 0x370e, v84
	v_fmac_f16_e32 v33, 0x370e, v37
	;; [unrolled: 1-line block ×6, first 2 shown]
	v_add_f16_e32 v36, v25, v93
	v_add_f16_e32 v84, v38, v93
	;; [unrolled: 1-line block ×6, first 2 shown]
	v_pack_b32_f16 v114, v103, v106
	v_sub_f16_e32 v25, v84, v92
	v_add_f16_e32 v106, v91, v101
	v_add_f16_e32 v26, v92, v84
	v_sub_f16_e32 v105, v101, v91
	v_sub_f16_e32 v103, v37, v34
	v_add_f16_e32 v104, v35, v39
	v_sub_f16_e32 v101, v36, v33
	v_add_f16_e32 v102, v32, v38
	ds_store_2addr_b32 v77, v83, v114 offset1:130
	ds_store_2addr_b32 v94, v108, v109 offset0:4 offset1:134
	ds_store_2addr_b32 v107, v86, v110 offset0:8 offset1:138
	ds_store_b32 v77, v40 offset:3120
	s_and_saveexec_b32 s1, s0
	s_cbranch_execz .LBB0_9
; %bb.8:
	v_sub_f16_e32 v32, v38, v32
	v_add_f16_e32 v33, v33, v36
	v_lshlrev_b32_e32 v36, 2, v89
	v_sub_f16_e32 v35, v39, v35
	v_add_f16_e32 v34, v34, v37
	v_perm_b32 v29, v30, v29, 0x5040100
	v_pack_b32_f16 v30, v33, v32
	v_add_nc_u32_e32 v32, 0xe00, v36
	v_perm_b32 v37, v105, v26, 0x5040100
	v_pack_b32_f16 v33, v34, v35
	v_perm_b32 v34, v106, v25, 0x5040100
	v_add_nc_u32_e32 v35, 0x1200, v36
	v_perm_b32 v38, v104, v103, 0x5040100
	v_add_nc_u32_e32 v39, 0x1600, v36
	v_perm_b32 v40, v102, v101, 0x5040100
	ds_store_2addr_b32 v32, v29, v30 offset0:14 offset1:144
	ds_store_2addr_b32 v35, v33, v34 offset0:18 offset1:148
	;; [unrolled: 1-line block ×3, first 2 shown]
	ds_store_b32 v36, v40 offset:6760
.LBB0_9:
	s_wait_alu 0xfffe
	s_or_b32 exec_lo, exec_lo, s1
	global_wb scope:SCOPE_SE
	s_wait_dscnt 0x0
	s_barrier_signal -1
	s_barrier_wait -1
	global_inv scope:SCOPE_SE
	s_clause 0x4
	global_load_b32 v81, v61, s[10:11] offset:3600
	global_load_b32 v83, v61, s[10:11] offset:4328
	;; [unrolled: 1-line block ×5, first 2 shown]
	v_add_nc_u32_e32 v107, 0xb00, v61
	v_add_nc_u32_e32 v40, 0x1000, v61
	;; [unrolled: 1-line block ×4, first 2 shown]
	ds_load_2addr_b32 v[29:30], v61 offset1:182
	ds_load_2addr_b32 v[32:33], v107 offset0:24 offset1:206
	ds_load_2addr_b32 v[34:35], v40 offset0:68 offset1:250
	;; [unrolled: 1-line block ×4, first 2 shown]
	s_add_nc_u64 s[8:9], s[8:9], 0x1c70
	s_wait_dscnt 0x3
	v_lshrrev_b32_e32 v112, 16, v33
	s_wait_dscnt 0x2
	v_lshrrev_b32_e32 v113, 16, v34
	v_lshrrev_b32_e32 v115, 16, v35
	s_wait_dscnt 0x0
	v_lshrrev_b32_e32 v117, 16, v38
	v_lshrrev_b32_e32 v119, 16, v39
	;; [unrolled: 1-line block ×7, first 2 shown]
	s_wait_loadcnt 0x4
	v_lshrrev_b32_e32 v94, 16, v81
	s_wait_loadcnt 0x3
	v_lshrrev_b32_e32 v93, 16, v83
	;; [unrolled: 2-line block ×5, first 2 shown]
	v_mul_f16_e32 v120, v112, v94
	v_mul_f16_e32 v121, v33, v94
	;; [unrolled: 1-line block ×8, first 2 shown]
	v_mul_f16_e64 v128, v119, v90
	v_mul_f16_e64 v129, v39, v90
	v_fma_f16 v33, v33, v81, -v120
	v_fmac_f16_e32 v121, v112, v81
	v_fma_f16 v34, v34, v83, -v122
	v_fmac_f16_e32 v123, v113, v83
	;; [unrolled: 2-line block ×4, first 2 shown]
	v_fma_f16 v39, v39, v88, -v128
	v_fmac_f16_e64 v129, v119, v88
	v_sub_f16_e32 v33, v29, v33
	v_sub_f16_e32 v112, v110, v121
	;; [unrolled: 1-line block ×9, first 2 shown]
	v_sub_f16_e64 v119, v118, v129
	v_fma_f16 v29, v29, 2.0, -v33
	v_fma_f16 v110, v110, 2.0, -v112
	v_fma_f16 v30, v30, 2.0, -v34
	v_fma_f16 v111, v111, 2.0, -v113
	v_fma_f16 v36, v36, 2.0, -v35
	v_fma_f16 v114, v114, 2.0, -v115
	v_fma_f16 v37, v37, 2.0, -v38
	v_fma_f16 v116, v116, 2.0, -v117
	v_fma_f16 v32, v32, 2.0, -v39
	v_fma_f16 v118, v118, 2.0, -v119
	v_pack_b32_f16 v33, v33, v112
	v_pack_b32_f16 v29, v29, v110
	;; [unrolled: 1-line block ×10, first 2 shown]
	ds_store_b32 v61, v33 offset:3640
	ds_store_2addr_b32 v61, v29, v30 offset1:182
	ds_store_2addr_b32 v40, v34, v35 offset0:68 offset1:250
	ds_store_2addr_b32 v108, v36, v37 offset0:44 offset1:226
	ds_store_b32 v61, v32 offset:2912
	ds_store_2addr_b32 v109, v38, v39 offset0:48 offset1:230
	global_wb scope:SCOPE_SE
	s_wait_dscnt 0x0
	s_barrier_signal -1
	s_barrier_wait -1
	global_inv scope:SCOPE_SE
	s_clause 0x9
	global_load_b32 v29, v[27:28], off offset:7280
	global_load_b32 v30, v61, s[8:9] offset:728
	global_load_b32 v36, v61, s[8:9] offset:1456
	;; [unrolled: 1-line block ×9, first 2 shown]
	ds_load_2addr_b32 v[27:28], v61 offset1:182
	s_wait_dscnt 0x0
	v_lshrrev_b32_e32 v32, 16, v27
	v_lshrrev_b32_e32 v34, 16, v28
	s_wait_loadcnt 0x9
	v_lshrrev_b32_e32 v33, 16, v29
	s_wait_loadcnt 0x8
	;; [unrolled: 2-line block ×3, first 2 shown]
	v_lshrrev_b32_e32 v116, 16, v38
	v_mul_f16_e32 v114, v32, v33
	v_mul_f16_e32 v33, v27, v33
	;; [unrolled: 1-line block ×4, first 2 shown]
	s_wait_loadcnt 0x4
	v_lshrrev_b32_e32 v117, 16, v39
	v_fma_f16 v27, v27, v29, -v114
	v_fmac_f16_e32 v33, v32, v29
	v_fma_f16 v28, v28, v30, -v115
	v_fmac_f16_e32 v35, v34, v30
	v_lshrrev_b32_e32 v114, 16, v36
	v_lshrrev_b32_e32 v115, 16, v37
	v_pack_b32_f16 v27, v27, v33
	s_wait_loadcnt 0x3
	v_lshrrev_b32_e32 v118, 16, v110
	v_pack_b32_f16 v28, v28, v35
	s_wait_loadcnt 0x2
	v_lshrrev_b32_e32 v119, 16, v111
	s_wait_loadcnt 0x1
	v_lshrrev_b32_e32 v120, 16, v112
	;; [unrolled: 2-line block ×3, first 2 shown]
	ds_store_2addr_b32 v61, v27, v28 offset1:182
	ds_load_2addr_b32 v[27:28], v108 offset0:44 offset1:226
	ds_load_2addr_b32 v[29:30], v107 offset0:24 offset1:206
	;; [unrolled: 1-line block ×4, first 2 shown]
	s_wait_dscnt 0x3
	v_lshrrev_b32_e32 v122, 16, v27
	v_lshrrev_b32_e32 v124, 16, v28
	s_wait_dscnt 0x2
	v_lshrrev_b32_e32 v126, 16, v29
	v_lshrrev_b32_e32 v128, 16, v30
	;; [unrolled: 3-line block ×4, first 2 shown]
	v_mul_f16_e32 v123, v27, v114
	v_mul_f16_e32 v125, v28, v115
	;; [unrolled: 1-line block ×5, first 2 shown]
	v_mul_f16_e64 v129, v30, v117
	v_mul_f16_e32 v116, v126, v116
	v_mul_f16_e64 v117, v128, v117
	v_mul_f16_e64 v131, v32, v118
	;; [unrolled: 1-line block ×9, first 2 shown]
	v_fmac_f16_e32 v123, v122, v36
	v_fmac_f16_e32 v125, v124, v37
	v_fma_f16 v27, v27, v36, -v114
	v_fma_f16 v28, v28, v37, -v115
	v_fmac_f16_e32 v127, v126, v38
	v_fmac_f16_e64 v129, v128, v39
	v_fma_f16 v29, v29, v38, -v116
	v_fma_f16 v30, v30, v39, -v117
	v_fmac_f16_e64 v131, v130, v110
	v_fmac_f16_e64 v133, v132, v111
	v_fma_f16 v32, v32, v110, -v118
	v_fma_f16 v33, v33, v111, -v119
	v_fmac_f16_e64 v135, v134, v112
	v_fmac_f16_e64 v137, v136, v113
	v_fma_f16 v34, v34, v112, -v120
	v_fma_f16 v35, v35, v113, -v121
	v_pack_b32_f16 v27, v27, v123
	v_pack_b32_f16 v28, v28, v125
	;; [unrolled: 1-line block ×8, first 2 shown]
	ds_store_2addr_b32 v108, v27, v28 offset0:44 offset1:226
	ds_store_2addr_b32 v107, v29, v30 offset0:24 offset1:206
	;; [unrolled: 1-line block ×4, first 2 shown]
	global_wb scope:SCOPE_SE
	s_wait_dscnt 0x0
	s_barrier_signal -1
	s_barrier_wait -1
	global_inv scope:SCOPE_SE
	ds_load_2addr_b32 v[27:28], v107 offset0:24 offset1:206
	ds_load_2addr_b32 v[29:30], v40 offset0:68 offset1:250
	;; [unrolled: 1-line block ×4, first 2 shown]
	ds_load_2addr_b32 v[36:37], v61 offset1:182
	global_wb scope:SCOPE_SE
	s_wait_dscnt 0x0
	s_barrier_signal -1
	s_barrier_wait -1
	global_inv scope:SCOPE_SE
	v_lshrrev_b32_e32 v108, 16, v27
	v_add_f16_e32 v38, v27, v29
	v_lshrrev_b32_e32 v39, 16, v32
	v_lshrrev_b32_e32 v107, 16, v34
	v_lshrrev_b32_e32 v109, 16, v29
	v_sub_f16_e32 v110, v34, v29
	v_sub_f16_e32 v111, v32, v27
	v_add_f16_e32 v112, v32, v34
	v_sub_f16_e32 v113, v29, v34
	v_sub_f16_e32 v114, v27, v32
	v_pk_add_f16 v115, v36, v32
	v_add_f16_e32 v118, v28, v30
	v_lshrrev_b32_e32 v119, 16, v33
	v_lshrrev_b32_e32 v120, 16, v35
	;; [unrolled: 1-line block ×4, first 2 shown]
	v_sub_f16_e32 v123, v35, v30
	v_sub_f16_e32 v124, v33, v28
	v_add_f16_e32 v125, v33, v35
	v_sub_f16_e32 v126, v30, v35
	v_sub_f16_e32 v127, v28, v33
	v_pk_add_f16 v128, v37, v33
	v_lshrrev_b32_e32 v116, 16, v36
	v_sub_f16_e32 v117, v27, v29
	v_lshrrev_b32_e32 v129, 16, v37
	v_sub_f16_e64 v130, v28, v30
	v_fma_f16 v131, -0.5, v38, v36
	v_sub_f16_e32 v38, v39, v107
	v_sub_f16_e64 v132, v108, v109
	v_add_f16_e32 v110, v111, v110
	v_fma_f16 v133, -0.5, v112, v36
	v_add_f16_e32 v36, v114, v113
	v_pk_add_f16 v27, v115, v27
	v_add_f16_e32 v111, v108, v109
	v_sub_f16_e32 v112, v39, v108
	v_sub_f16_e32 v113, v107, v109
	v_add_f16_e32 v114, v39, v107
	v_sub_f16_e32 v39, v108, v39
	v_sub_f16_e32 v107, v109, v107
	v_fma_f16 v108, -0.5, v118, v37
	v_sub_f16_e32 v109, v119, v120
	v_sub_f16_e32 v115, v121, v122
	v_add_f16_e32 v118, v124, v123
	v_fma_f16 v37, -0.5, v125, v37
	v_add_f16_e32 v123, v127, v126
	v_pk_add_f16 v28, v128, v28
	v_add_f16_e32 v124, v121, v122
	v_add_f16_e32 v127, v119, v120
	v_sub_f16_e32 v33, v33, v35
	v_fma_f16 v128, -0.5, v111, v116
	v_add_f16_e32 v39, v39, v107
	v_fmamk_f16 v107, v109, 0xbb9c, v108
	v_fmamk_f16 v111, v115, 0x3b9c, v37
	v_fmac_f16_e32 v37, 0xbb9c, v115
	v_pk_add_f16 v28, v28, v30
	v_fma_f16 v30, -0.5, v124, v129
	v_fmac_f16_e64 v129, -0.5, v127
	v_sub_f16_e32 v32, v32, v34
	v_sub_f16_e32 v125, v119, v121
	;; [unrolled: 1-line block ×5, first 2 shown]
	v_fma_f16 v122, 0x3b9c, v132, v133
	v_fmac_f16_e64 v133, 0xbb9c, v132
	v_pk_add_f16 v27, v27, v29
	v_fmac_f16_e32 v108, 0x3b9c, v109
	v_fmac_f16_e32 v107, 0xb8b4, v115
	;; [unrolled: 1-line block ×4, first 2 shown]
	v_pk_add_f16 v28, v28, v35
	v_fmamk_f16 v35, v33, 0x3b9c, v30
	v_fma_f16 v109, 0xbb9c, v130, v129
	v_fmac_f16_e64 v129, 0x3b9c, v130
	v_fmac_f16_e32 v30, 0xbb9c, v33
	v_fma_f16 v121, 0xbb9c, v38, v131
	v_fmac_f16_e64 v131, 0x3b9c, v38
	v_add_f16_e32 v29, v112, v113
	v_fmac_f16_e32 v116, -0.5, v114
	v_add_f16_e32 v112, v125, v126
	v_add_f16_e32 v113, v119, v120
	v_fmac_f16_e32 v122, 0xb8b4, v38
	v_fmac_f16_e64 v133, 0x38b4, v38
	v_pk_add_f16 v34, v27, v34
	v_fma_f16 v38, 0x3b9c, v32, v128
	v_fmac_f16_e64 v128, 0xbb9c, v32
	v_fmac_f16_e32 v107, 0x34f2, v118
	v_fmac_f16_e64 v35, 0x38b4, v130
	v_fmac_f16_e32 v109, 0x38b4, v33
	v_fmac_f16_e64 v129, 0xb8b4, v33
	v_fmac_f16_e64 v30, 0xb8b4, v130
	;; [unrolled: 1-line block ×4, first 2 shown]
	v_fmamk_f16 v119, v117, 0xbb9c, v116
	v_fmac_f16_e32 v116, 0x3b9c, v117
	v_fmac_f16_e32 v122, 0x34f2, v36
	v_fmac_f16_e64 v133, 0x34f2, v36
	v_fmac_f16_e32 v38, 0x38b4, v117
	v_fmac_f16_e64 v128, 0xb8b4, v117
	v_pk_add_f16 v27, v34, v28
	v_pk_add_f16 v36, v34, v28 neg_lo:[0,1] neg_hi:[0,1]
	v_fmac_f16_e32 v35, 0x34f2, v112
	v_fmac_f16_e32 v109, 0x34f2, v113
	v_fmac_f16_e64 v129, 0x34f2, v113
	v_mul_f16_e32 v28, 0x38b4, v107
	v_fmac_f16_e32 v108, 0x38b4, v115
	v_fmac_f16_e32 v30, 0x34f2, v112
	;; [unrolled: 1-line block ×3, first 2 shown]
	v_fmac_f16_e64 v131, 0x34f2, v110
	v_fmac_f16_e32 v119, 0x38b4, v32
	v_fmac_f16_e32 v116, 0xb8b4, v32
	;; [unrolled: 1-line block ×5, first 2 shown]
	v_fmac_f16_e64 v128, 0x34f2, v29
	v_mul_f16_e32 v29, 0xb8b4, v35
	v_mul_f16_e32 v34, 0xbb9c, v109
	v_mul_f16_e64 v110, 0xbb9c, v129
	v_fmac_f16_e32 v28, 0x3a79, v35
	v_mul_f16_e32 v35, 0x34f2, v109
	v_mul_f16_e64 v117, 0xb4f2, v129
	v_fmac_f16_e32 v108, 0x34f2, v118
	v_mul_f16_e32 v115, 0xb8b4, v30
	v_mul_f16_e32 v118, 0xba79, v30
	v_fmac_f16_e32 v119, 0x34f2, v39
	v_fmac_f16_e32 v116, 0x34f2, v39
	;; [unrolled: 1-line block ×9, first 2 shown]
	v_add_f16_e32 v109, v38, v28
	v_sub_f16_e32 v111, v38, v28
	v_add_f16_e32 v32, v121, v29
	v_add_f16_e32 v37, v122, v34
	v_add_f16_e64 v38, v133, v110
	v_add_f16_e32 v114, v119, v35
	v_add_f16_e32 v113, v116, v117
	v_add_f16_e64 v39, v131, v115
	v_add_f16_e64 v112, v128, v118
	v_sub_f16_e32 v33, v121, v29
	v_sub_f16_e32 v34, v122, v34
	v_sub_f16_e64 v29, v133, v110
	v_sub_f16_e32 v110, v119, v35
	v_sub_f16_e64 v30, v131, v115
	;; [unrolled: 2-line block ×3, first 2 shown]
	v_pack_b32_f16 v116, v38, v113
	v_pack_b32_f16 v115, v37, v114
	;; [unrolled: 1-line block ×8, first 2 shown]
	ds_store_2addr_b64 v31, v[27:28], v[115:116] offset1:1
	ds_store_2addr_b64 v31, v[35:36], v[117:118] offset0:2 offset1:3
	ds_store_b64 v31, v[119:120] offset:32
	global_wb scope:SCOPE_SE
	s_wait_dscnt 0x0
	s_barrier_signal -1
	s_barrier_wait -1
	global_inv scope:SCOPE_SE
	s_and_saveexec_b32 s1, vcc_lo
	s_cbranch_execz .LBB0_11
; %bb.10:
	v_add_nc_u32_e32 v25, 0x400, v61
	ds_load_2addr_b32 v[31:32], v61 offset1:140
	v_add_nc_u32_e32 v26, 0x800, v61
	v_add_nc_u32_e32 v27, 0xc00, v61
	ds_load_2addr_b32 v[29:30], v40 offset0:96 offset1:236
	ds_load_b32 v103, v61 offset:6720
	ds_load_2addr_b32 v[37:38], v25 offset0:24 offset1:164
	v_add_nc_u32_e32 v25, 0x1500, v61
	ds_load_2addr_b32 v[39:40], v26 offset0:48 offset1:188
	ds_load_2addr_b32 v[33:34], v27 offset0:72 offset1:212
	;; [unrolled: 1-line block ×3, first 2 shown]
	s_wait_dscnt 0x6
	v_mov_b32_e32 v27, v31
	v_lshrrev_b32_e32 v109, 16, v32
	s_wait_dscnt 0x5
	v_lshrrev_b32_e32 v108, 16, v29
	v_lshrrev_b32_e32 v107, 16, v30
	s_wait_dscnt 0x4
	v_lshrrev_b32_e32 v104, 16, v103
	s_wait_dscnt 0x3
	v_lshrrev_b32_e32 v114, 16, v37
	v_lshrrev_b32_e32 v113, 16, v38
	s_wait_dscnt 0x2
	;; [unrolled: 5-line block ×3, first 2 shown]
	v_lshrrev_b32_e32 v106, 16, v25
	v_lshrrev_b32_e32 v105, 16, v26
	v_mov_b32_e32 v36, v40
.LBB0_11:
	s_wait_alu 0xfffe
	s_or_b32 exec_lo, exec_lo, s1
	v_mul_f16_e32 v35, v76, v109
	v_mul_f16_e32 v31, v76, v32
	;; [unrolled: 1-line block ×4, first 2 shown]
	v_lshrrev_b32_e32 v75, 16, v27
	v_fmac_f16_e32 v35, v4, v32
	v_fma_f16 v32, v4, v109, -v31
	v_fmac_f16_e32 v28, v5, v37
	v_mul_f16_e32 v4, v74, v113
	v_mul_f16_e32 v74, v74, v38
	;; [unrolled: 1-line block ×3, first 2 shown]
	v_fma_f16 v37, v5, v114, -v40
	v_lshrrev_b32_e32 v40, 16, v36
	v_fmac_f16_e32 v4, v6, v38
	v_fma_f16 v38, v6, v113, -v74
	v_fmac_f16_e32 v31, v7, v39
	v_mul_f16_e32 v39, v73, v39
	v_mul_f16_e32 v5, v72, v40
	;; [unrolled: 1-line block ×5, first 2 shown]
	v_fma_f16 v39, v7, v112, -v39
	v_fmac_f16_e32 v5, v8, v36
	v_fma_f16 v36, v8, v40, -v72
	v_fmac_f16_e32 v6, v9, v33
	v_fma_f16 v33, v9, v111, -v71
	v_mul_f16_e32 v7, v70, v110
	v_mul_f16_e32 v40, v70, v34
	;; [unrolled: 1-line block ×5, first 2 shown]
	v_fmac_f16_e32 v7, v10, v34
	v_fma_f16 v34, v10, v110, -v40
	v_fmac_f16_e32 v8, v11, v29
	v_fma_f16 v10, v11, v108, -v69
	v_fmac_f16_e32 v9, v0, v30
	v_mul_f16_e32 v11, v68, v103
	v_mul_f16_e32 v40, v67, v30
	;; [unrolled: 1-line block ×5, first 2 shown]
	v_fma_f16 v11, v3, v104, -v11
	v_fma_f16 v40, v0, v107, -v40
	v_fmac_f16_e32 v30, v1, v25
	v_mul_f16_e32 v25, v65, v105
	v_fmac_f16_e32 v29, v3, v103
	v_sub_f16_e32 v0, v32, v11
	v_fma_f16 v3, v1, v106, -v66
	v_add_f16_e32 v1, v11, v32
	v_fmac_f16_e32 v25, v2, v26
	v_mul_f16_e32 v26, v65, v26
	v_add_f16_e64 v140, v29, v35
	v_mul_f16_e32 v71, 0xb770, v0
	v_mul_f16_e32 v122, 0xb94e, v0
	v_sub_f16_e64 v141, v35, v29
	v_fma_f16 v68, v2, v105, -v26
	v_mul_f16_e32 v73, 0x3b15, v1
	v_mul_f16_e32 v106, 0xba95, v0
	v_fma_f16 v65, v140, 0x3b15, -v71
	v_mul_f16_e32 v107, 0x388b, v1
	v_mul_f16_e32 v111, 0x2fb7, v1
	;; [unrolled: 1-line block ×3, first 2 shown]
	v_fma_f16 v74, v140, 0xb9fd, -v122
	v_mul_f16_e32 v127, 0xb9fd, v1
	v_mul_f16_e64 v138, 0xbbc4, v1
	v_sub_f16_e32 v1, v37, v68
	v_add_f16_e32 v105, v68, v37
	v_fma_f16 v66, 0xb770, v141, v73
	v_fma_f16 v67, v140, 0x388b, -v106
	v_add_f16_e32 v2, v27, v65
	v_fma_f16 v65, 0xba95, v141, v107
	v_mul_f16_e32 v109, 0xbbf1, v0
	v_mul_f16_e32 v114, 0xbb7b, v0
	v_mul_f16_e64 v132, 0xb3a8, v0
	v_add_f16_e32 v0, v27, v74
	v_fma_f16 v74, 0xb94e, v141, v127
	v_fma_f16 v104, 0xb3a8, v141, v138
	v_add_f16_e64 v153, v25, v28
	v_mul_f16_e32 v103, 0xba95, v1
	v_sub_f16_e64 v154, v28, v25
	v_mul_f16_e32 v110, 0xbb7b, v1
	v_mul_f16_e32 v112, 0xb5ac, v105
	v_mul_f16_e64 v139, 0x2fb7, v105
	v_add_f16_e32 v26, v75, v66
	v_add_f16_e32 v66, v27, v67
	;; [unrolled: 1-line block ×3, first 2 shown]
	v_fma_f16 v72, 0xbb7b, v141, v118
	v_add_f16_e32 v74, v75, v74
	v_add_f16_e32 v113, v75, v104
	v_fma_f16 v108, v153, 0x388b, -v103
	v_mul_f16_e32 v104, 0x388b, v105
	v_mul_f16_e32 v116, 0xb3a8, v1
	v_fma_f16 v115, v153, 0xb5ac, -v110
	v_fma_f16 v117, 0xbb7b, v154, v112
	v_mul_f16_e32 v126, 0x394e, v1
	v_mul_f16_e64 v128, 0xb9fd, v105
	v_mul_f16_e64 v134, 0x3bf1, v1
	;; [unrolled: 1-line block ×3, first 2 shown]
	v_fma_f16 v1, 0x3bf1, v154, v139
	v_fma_f16 v69, 0xbbf1, v141, v111
	v_add_f16_e32 v72, v75, v72
	v_add_f16_e32 v2, v108, v2
	v_fma_f16 v108, 0xba95, v154, v104
	v_mul_f16_e32 v120, 0xbbc4, v105
	v_add_f16_e32 v66, v115, v66
	v_add_f16_e32 v65, v117, v65
	v_fma_f16 v115, 0x394e, v154, v128
	v_fma_f16 v117, v153, 0x2fb7, -v134
	v_add_f16_e32 v1, v1, v74
	v_mul_f16_e64 v152, 0x3b15, v105
	v_sub_f16_e32 v74, v38, v3
	v_fma_f16 v67, v140, 0x2fb7, -v109
	v_fma_f16 v70, v140, 0xb5ac, -v114
	v_add_f16_e32 v69, v75, v69
	v_add_f16_e32 v26, v108, v26
	v_fma_f16 v108, 0xb3a8, v154, v120
	v_add_f16_e32 v72, v115, v72
	v_add_f16_e32 v0, v117, v0
	;; [unrolled: 1-line block ×3, first 2 shown]
	v_add_f16_e64 v162, v30, v4
	v_mul_f16_e32 v105, 0xbbf1, v74
	v_fma_f16 v121, 0x3770, v154, v152
	v_mul_f16_e32 v117, 0xb3a8, v74
	v_add_f16_e32 v67, v27, v67
	v_add_f16_e32 v70, v27, v70
	v_fma_f16 v76, v140, 0xbbc4, -v132
	v_fma_f16 v119, v153, 0xbbc4, -v116
	v_add_f16_e32 v69, v108, v69
	v_fma_f16 v108, v153, 0xb9fd, -v126
	v_sub_f16_e64 v163, v4, v30
	v_fma_f16 v123, v162, 0x2fb7, -v105
	v_add_f16_e32 v121, v121, v113
	v_fma_f16 v113, v162, 0xbbc4, -v117
	v_mul_f16_e32 v125, 0x3b7b, v74
	v_mul_f16_e64 v130, 0xb5ac, v115
	v_add_f16_e32 v76, v27, v76
	v_add_f16_e32 v67, v119, v67
	;; [unrolled: 1-line block ×3, first 2 shown]
	v_fma_f16 v108, v153, 0x3b15, -v145
	v_mul_f16_e32 v119, 0xbbc4, v115
	v_add_f16_e32 v2, v123, v2
	v_add_f16_e32 v66, v113, v66
	v_fma_f16 v113, v162, 0xb5ac, -v125
	v_mul_f16_e64 v142, 0x3b15, v115
	v_fma_f16 v123, 0x3b7b, v163, v130
	v_add_f16_e32 v76, v108, v76
	v_mul_f16_e32 v108, 0x2fb7, v115
	v_fma_f16 v129, 0xb3a8, v163, v119
	v_mul_f16_e64 v146, 0xba95, v74
	v_add_f16_e32 v67, v113, v67
	v_fma_f16 v113, 0x3770, v163, v142
	v_add_f16_e32 v69, v123, v69
	v_mul_f16_e64 v155, 0x388b, v115
	v_sub_f16_e32 v123, v39, v40
	v_fma_f16 v124, 0xbbf1, v163, v108
	v_add_f16_e64 v65, v129, v65
	v_mul_f16_e64 v135, 0x3770, v74
	v_fma_f16 v129, v162, 0x388b, -v146
	v_add_f16_e32 v72, v113, v72
	v_mul_f16_e64 v158, 0xb94e, v74
	v_fma_f16 v74, 0xba95, v163, v155
	v_add_f16_e64 v170, v9, v31
	v_mul_f16_e32 v113, 0xbb7b, v123
	v_add_f16_e32 v26, v124, v26
	v_fma_f16 v124, v162, 0x3b15, -v135
	v_add_f16_e64 v0, v129, v0
	v_mul_f16_e64 v166, 0xb9fd, v115
	v_fma_f16 v115, v162, 0xb9fd, -v158
	v_add_f16_e32 v1, v74, v1
	v_add_f16_e32 v74, v40, v39
	v_fma_f16 v129, v170, 0xb5ac, -v113
	v_add_f16_e32 v70, v124, v70
	v_fma_f16 v124, 0xb94e, v163, v166
	v_add_f16_e32 v76, v115, v76
	v_sub_f16_e64 v173, v31, v9
	v_mul_f16_e32 v115, 0xb5ac, v74
	v_add_f16_e64 v2, v129, v2
	v_mul_f16_e64 v129, 0xb9fd, v74
	v_add_f16_e64 v133, v124, v121
	v_mul_f16_e64 v137, 0x3770, v123
	v_fma_f16 v124, 0xbb7b, v173, v115
	v_mul_f16_e64 v168, 0x3a95, v123
	v_fma_f16 v136, 0x394e, v173, v129
	v_mul_f16_e64 v143, 0x3b15, v74
	v_mul_f16_e64 v151, 0xbbf1, v123
	v_add_f16_e32 v26, v124, v26
	v_fma_f16 v124, v170, 0x3b15, -v137
	v_add_f16_e64 v65, v136, v65
	v_mul_f16_e64 v156, 0x2fb7, v74
	v_fma_f16 v136, v170, 0x388b, -v168
	v_mul_f16_e32 v121, 0x394e, v123
	v_fma_f16 v144, 0x3770, v173, v143
	v_add_f16_e32 v67, v124, v67
	v_mul_f16_e64 v159, 0x33a8, v123
	v_fma_f16 v124, v170, 0x2fb7, -v151
	v_mul_f16_e64 v165, 0xbbc4, v74
	v_fma_f16 v123, 0xbbf1, v173, v156
	v_mul_f16_e64 v172, 0x388b, v74
	v_add_f16_e64 v74, v136, v76
	v_sub_f16_e32 v76, v36, v10
	v_add_f16_e64 v136, v10, v36
	v_fma_f16 v131, v170, 0xb9fd, -v121
	v_add_f16_e64 v69, v144, v69
	v_add_f16_e32 v70, v124, v70
	v_fma_f16 v124, 0x33a8, v173, v165
	v_add_f16_e32 v72, v123, v72
	v_fma_f16 v147, 0x3a95, v173, v172
	v_add_f16_e64 v177, v8, v5
	v_sub_f16_e64 v178, v5, v8
	v_mul_f16_e32 v123, 0xb94e, v76
	v_mul_f16_e64 v144, 0x2fb7, v136
	v_add_f16_e64 v66, v131, v66
	v_fma_f16 v131, v170, 0xbbc4, -v159
	v_add_f16_e32 v1, v124, v1
	v_mul_f16_e64 v124, 0xb9fd, v136
	v_add_f16_e64 v147, v147, v133
	v_fma_f16 v133, v177, 0xb9fd, -v123
	v_fma_f16 v157, 0x3bf1, v178, v144
	v_mul_f16_e64 v148, 0xba95, v76
	v_add_f16_e64 v0, v131, v0
	v_mul_f16_e64 v131, 0x3bf1, v76
	v_fma_f16 v149, 0xb94e, v178, v124
	v_add_f16_e64 v2, v133, v2
	v_add_f16_e64 v65, v157, v65
	v_fma_f16 v133, v177, 0x388b, -v148
	v_mul_f16_e64 v157, 0x388b, v136
	v_mul_f16_e64 v160, 0x33a8, v76
	v_fma_f16 v150, v177, 0x2fb7, -v131
	v_add_f16_e64 v26, v149, v26
	v_mul_f16_e64 v164, 0xbbc4, v136
	v_mul_f16_e64 v169, 0x3770, v76
	v_add_f16_e64 v67, v133, v67
	v_fma_f16 v133, 0xba95, v178, v157
	v_fma_f16 v149, v177, 0xbbc4, -v160
	v_mul_f16_e64 v171, 0x3b15, v136
	v_sub_f16_e64 v181, v33, v34
	v_mul_f16_e64 v176, 0xbb7b, v76
	v_add_f16_e32 v76, v34, v33
	v_mul_f16_e64 v180, 0xb5ac, v136
	v_add_f16_e64 v66, v150, v66
	v_fma_f16 v150, 0x33a8, v178, v164
	v_add_f16_e64 v174, v133, v69
	v_add_f16_e64 v175, v149, v70
	v_fma_f16 v69, 0x3770, v178, v171
	v_add_f16_e64 v183, v7, v6
	v_mul_f16_e64 v133, 0xb3a8, v181
	v_sub_f16_e64 v182, v6, v7
	v_mul_f16_e64 v136, 0xbbc4, v76
	v_fma_f16 v149, 0xbb7b, v178, v180
	v_fma_f16 v161, v177, 0x3b15, -v169
	v_add_f16_e64 v72, v150, v72
	v_fma_f16 v150, v183, 0xbbc4, -v133
	v_add_f16_e64 v185, v69, v1
	v_fma_f16 v69, 0xb3a8, v182, v136
	v_add_f16_e64 v187, v149, v147
	v_mul_f16_e64 v147, 0x3770, v181
	v_add_f16_e64 v0, v161, v0
	v_fma_f16 v70, v177, 0xb5ac, -v176
	v_add_f16_e64 v1, v150, v2
	v_add_f16_e32 v2, v69, v26
	v_mul_f16_e64 v149, 0x3b15, v76
	v_mul_f16_e64 v150, 0xb94e, v181
	v_mul_f16_e64 v161, 0xb9fd, v76
	v_fma_f16 v26, v183, 0x3b15, -v147
	v_mul_f16_e64 v167, 0x3a95, v181
	v_add_f16_e64 v186, v70, v74
	v_fma_f16 v69, 0x3770, v182, v149
	v_fma_f16 v70, v183, 0xb9fd, -v150
	v_fma_f16 v74, 0xb94e, v182, v161
	v_add_f16_e32 v26, v26, v66
	v_fma_f16 v66, v183, 0x388b, -v167
	v_add_f16_e32 v69, v69, v65
	v_add_f16_e32 v65, v70, v67
	v_add_f16_e64 v70, v74, v174
	v_mul_f16_e64 v174, 0x388b, v76
	v_add_f16_e64 v66, v66, v175
	v_mul_f16_e64 v175, 0xbb7b, v181
	v_mul_f16_e64 v179, 0xb5ac, v76
	;; [unrolled: 1-line block ×4, first 2 shown]
	v_fma_f16 v67, 0x3a95, v182, v174
	v_fma_f16 v76, v183, 0xb5ac, -v175
	v_fma_f16 v188, 0xbb7b, v182, v179
	v_fma_f16 v189, v183, 0x2fb7, -v181
	v_fma_f16 v190, 0x3bf1, v182, v184
	v_add_f16_e32 v74, v67, v72
	v_add_f16_e32 v72, v76, v0
	v_add_f16_e64 v76, v188, v185
	v_add_f16_e64 v0, v189, v186
	;; [unrolled: 1-line block ×3, first 2 shown]
	global_wb scope:SCOPE_SE
	s_barrier_signal -1
	s_barrier_wait -1
	global_inv scope:SCOPE_SE
	s_and_saveexec_b32 s1, vcc_lo
	s_cbranch_execz .LBB0_13
; %bb.12:
	v_add_f16_e32 v35, v27, v35
	v_add_f16_e32 v32, v32, v75
	v_mul_f16_e64 v186, 0xb770, v141
	v_mul_f16_e64 v185, 0x3b15, v140
	v_mul_f16_e64 v187, 0x388b, v140
	v_add_f16_e32 v28, v28, v35
	v_add_f16_e32 v32, v37, v32
	v_mul_f16_e64 v188, 0xba95, v141
	v_mul_f16_e64 v189, 0x2fb7, v140
	v_mul_f16_e64 v190, 0xbbf1, v141
	v_add_f16_e32 v4, v4, v28
	v_add_f16_e32 v32, v38, v32
	v_mul_f16_e64 v191, 0xb5ac, v140
	v_mul_f16_e64 v193, 0xb9fd, v140
	v_mul_f16_e64 v140, 0xbbc4, v140
	v_add_f16_e32 v4, v31, v4
	v_sub_f16_e64 v31, v73, v186
	v_add_f16_e32 v32, v39, v32
	v_mul_f16_e64 v192, 0xbb7b, v141
	v_mul_f16_e64 v194, 0xb94e, v141
	v_add_f16_e32 v4, v5, v4
	v_add_f16_e32 v5, v75, v31
	;; [unrolled: 1-line block ×3, first 2 shown]
	v_mul_f16_e64 v195, 0x388b, v153
	v_mul_f16_e64 v196, 0xba95, v154
	;; [unrolled: 1-line block ×6, first 2 shown]
	v_add_f16_e64 v132, v140, v132
	v_add_f16_e64 v122, v193, v122
	;; [unrolled: 1-line block ×3, first 2 shown]
	v_sub_f16_e64 v111, v111, v190
	v_add_f16_e64 v109, v189, v109
	v_sub_f16_e64 v107, v107, v188
	v_add_f16_e64 v106, v187, v106
	v_add_f16_e64 v39, v185, v71
	v_add_f16_e32 v4, v6, v4
	v_add_f16_e32 v31, v33, v31
	v_mul_f16_e64 v141, 0xb3a8, v141
	v_mul_f16_e64 v201, 0xb9fd, v153
	;; [unrolled: 1-line block ×11, first 2 shown]
	v_add_f16_e64 v132, v27, v132
	v_sub_f16_e64 v127, v127, v194
	v_add_f16_e32 v122, v27, v122
	v_sub_f16_e64 v118, v118, v192
	v_add_f16_e32 v114, v27, v114
	v_add_f16_e32 v111, v75, v111
	v_sub_f16_e64 v120, v120, v200
	v_add_f16_e32 v109, v27, v109
	v_add_f16_e64 v116, v199, v116
	v_add_f16_e32 v107, v75, v107
	v_sub_f16_e64 v112, v112, v198
	v_add_f16_e32 v106, v27, v106
	v_add_f16_e64 v110, v197, v110
	v_sub_f16_e64 v32, v104, v196
	v_add_f16_e32 v27, v27, v39
	v_add_f16_e64 v6, v195, v103
	v_add_f16_e32 v4, v7, v4
	v_add_f16_e32 v7, v34, v31
	v_mul_f16_e64 v153, 0x3b15, v153
	v_mul_f16_e64 v154, 0x3770, v154
	v_sub_f16_e64 v138, v138, v141
	v_mul_f16_e64 v211, 0x3b15, v162
	v_mul_f16_e64 v212, 0x3770, v163
	;; [unrolled: 1-line block ×10, first 2 shown]
	v_add_f16_e32 v127, v75, v127
	v_sub_f16_e64 v139, v139, v204
	v_add_f16_e64 v134, v203, v134
	v_add_f16_e32 v118, v75, v118
	v_sub_f16_e64 v128, v128, v202
	v_add_f16_e64 v126, v201, v126
	v_add_f16_e32 v111, v120, v111
	v_sub_f16_e64 v120, v130, v210
	v_add_f16_e32 v109, v116, v109
	v_add_f16_e64 v116, v209, v125
	v_add_f16_e32 v107, v112, v107
	v_sub_f16_e64 v112, v119, v208
	v_add_f16_e32 v106, v110, v106
	;; [unrolled: 4-line block ×3, first 2 shown]
	v_add_f16_e64 v27, v205, v105
	v_add_f16_e32 v4, v8, v4
	v_add_f16_e32 v7, v10, v7
	v_mul_f16_e64 v162, 0xb9fd, v162
	v_mul_f16_e64 v163, 0xb94e, v163
	v_add_f16_e64 v138, v75, v138
	v_sub_f16_e64 v152, v152, v154
	v_add_f16_e64 v145, v153, v145
	v_mul_f16_e64 v221, 0x2fb7, v170
	v_mul_f16_e64 v222, 0xbbf1, v173
	v_mul_f16_e64 v223, 0xbbc4, v170
	v_mul_f16_e64 v224, 0x33a8, v173
	v_mul_f16_e64 v225, 0xb9fd, v177
	v_mul_f16_e64 v226, 0xb94e, v178
	v_mul_f16_e64 v227, 0x2fb7, v177
	v_mul_f16_e64 v228, 0x3bf1, v178
	v_mul_f16_e64 v229, 0x388b, v177
	v_mul_f16_e64 v230, 0xba95, v178
	v_add_f16_e64 v127, v139, v127
	v_sub_f16_e64 v139, v155, v214
	v_add_f16_e64 v122, v134, v122
	v_add_f16_e64 v134, v213, v146
	;; [unrolled: 1-line block ×3, first 2 shown]
	v_sub_f16_e64 v128, v142, v212
	v_add_f16_e32 v114, v126, v114
	v_add_f16_e64 v126, v211, v135
	v_add_f16_e32 v111, v120, v111
	v_sub_f16_e64 v120, v143, v220
	v_add_f16_e32 v109, v116, v109
	v_add_f16_e64 v116, v219, v137
	v_add_f16_e32 v107, v112, v107
	;; [unrolled: 4-line block ×4, first 2 shown]
	v_add_f16_e32 v7, v40, v7
	v_mul_f16_e64 v170, 0x388b, v170
	v_mul_f16_e64 v173, 0x3a95, v173
	v_add_f16_e64 v138, v152, v138
	v_sub_f16_e64 v152, v166, v163
	v_add_f16_e64 v132, v145, v132
	v_add_f16_e64 v145, v162, v158
	v_mul_f16_e64 v231, 0xbbc4, v177
	v_mul_f16_e64 v232, 0x33a8, v178
	;; [unrolled: 1-line block ×10, first 2 shown]
	v_add_f16_e64 v127, v139, v127
	v_sub_f16_e64 v139, v165, v224
	v_add_f16_e64 v122, v134, v122
	v_add_f16_e64 v134, v223, v159
	;; [unrolled: 1-line block ×3, first 2 shown]
	v_sub_f16_e64 v128, v156, v222
	v_add_f16_e32 v114, v126, v114
	v_add_f16_e64 v126, v221, v151
	v_add_f16_e32 v111, v120, v111
	v_sub_f16_e64 v120, v157, v230
	v_add_f16_e32 v109, v116, v109
	v_add_f16_e64 v116, v229, v148
	v_add_f16_e32 v107, v112, v107
	;; [unrolled: 4-line block ×3, first 2 shown]
	v_sub_f16_e64 v8, v124, v226
	v_add_f16_e32 v6, v10, v6
	v_add_f16_e32 v4, v30, v4
	v_add_f16_e64 v9, v225, v123
	v_add_f16_e32 v3, v3, v7
	v_mul_f16_e64 v177, 0xb5ac, v177
	v_mul_f16_e64 v178, 0xbb7b, v178
	v_add_f16_e64 v138, v152, v138
	v_sub_f16_e64 v152, v172, v173
	v_add_f16_e64 v132, v145, v132
	v_add_f16_e64 v145, v170, v168
	v_mul_f16_e64 v239, 0x388b, v183
	v_mul_f16_e64 v240, 0x3a95, v182
	;; [unrolled: 1-line block ×4, first 2 shown]
	v_add_f16_e64 v127, v139, v127
	v_sub_f16_e64 v139, v171, v234
	v_add_f16_e64 v122, v134, v122
	v_add_f16_e64 v134, v233, v169
	;; [unrolled: 1-line block ×3, first 2 shown]
	v_sub_f16_e64 v128, v164, v232
	v_add_f16_e32 v114, v126, v114
	v_add_f16_e64 v126, v231, v160
	v_add_f16_e32 v111, v120, v111
	v_sub_f16_e64 v120, v161, v238
	v_add_f16_e32 v109, v116, v109
	v_add_f16_e32 v107, v112, v107
	v_sub_f16_e64 v35, v149, v237
	v_add_f16_e64 v28, v154, v150
	v_add_f16_e32 v37, v106, v37
	v_add_f16_e64 v38, v236, v147
	v_add_f16_e32 v5, v8, v5
	v_sub_f16_e64 v7, v136, v235
	v_add_f16_e32 v4, v25, v4
	v_add_f16_e32 v6, v9, v6
	;; [unrolled: 1-line block ×3, first 2 shown]
	v_add_f16_e64 v8, v141, v133
	v_mul_f16_e64 v166, 0x2fb7, v183
	v_mul_f16_e64 v153, 0x3bf1, v182
	v_add_f16_e64 v138, v152, v138
	v_sub_f16_e64 v152, v180, v178
	v_add_f16_e64 v132, v145, v132
	v_add_f16_e64 v145, v177, v176
	;; [unrolled: 1-line block ×3, first 2 shown]
	v_sub_f16_e64 v139, v179, v140
	v_add_f16_e64 v122, v134, v122
	v_add_f16_e64 v134, v163, v175
	;; [unrolled: 1-line block ×3, first 2 shown]
	v_sub_f16_e64 v128, v174, v240
	v_add_f16_e32 v114, v126, v114
	v_add_f16_e64 v125, v239, v167
	v_add_f16_e32 v111, v120, v111
	v_add_f16_e32 v35, v35, v107
	;; [unrolled: 1-line block ×4, first 2 shown]
	v_mul_u32_u24_e32 v7, 0x82, v64
	v_add_f16_e32 v3, v11, v3
	v_add_f16_e32 v6, v8, v6
	;; [unrolled: 1-line block ×4, first 2 shown]
	v_add_f16_e64 v138, v152, v138
	v_sub_f16_e64 v152, v184, v153
	v_add_f16_e64 v132, v145, v132
	v_add_f16_e64 v145, v166, v181
	;; [unrolled: 1-line block ×4, first 2 shown]
	v_add_lshl_u32 v7, v7, v63, 2
	v_pack_b32_f16 v3, v4, v3
	v_pack_b32_f16 v4, v6, v5
	v_pack_b32_f16 v5, v8, v35
	v_pack_b32_f16 v6, v9, v111
	v_add_f16_e32 v8, v125, v114
	v_add_f16_e64 v9, v134, v122
	v_add_f16_e64 v138, v152, v138
	;; [unrolled: 1-line block ×3, first 2 shown]
	ds_store_2addr_b32 v7, v3, v4 offset1:10
	ds_store_2addr_b32 v7, v5, v6 offset0:20 offset1:30
	v_pack_b32_f16 v3, v8, v118
	v_pack_b32_f16 v4, v9, v127
	v_perm_b32 v6, v67, v0, 0x5040100
	v_pack_b32_f16 v5, v10, v138
	v_perm_b32 v8, v76, v72, 0x5040100
	v_perm_b32 v9, v74, v66, 0x5040100
	;; [unrolled: 1-line block ×5, first 2 shown]
	ds_store_2addr_b32 v7, v3, v4 offset0:40 offset1:50
	ds_store_2addr_b32 v7, v5, v6 offset0:60 offset1:70
	ds_store_2addr_b32 v7, v8, v9 offset0:80 offset1:90
	ds_store_2addr_b32 v7, v10, v11 offset0:100 offset1:110
	ds_store_b32 v7, v25 offset:480
.LBB0_13:
	s_wait_alu 0xfffe
	s_or_b32 exec_lo, exec_lo, s1
	global_wb scope:SCOPE_SE
	s_wait_dscnt 0x0
	s_barrier_signal -1
	s_barrier_wait -1
	global_inv scope:SCOPE_SE
	ds_load_b32 v3, v61
	ds_load_b32 v9, v61 offset:1040
	ds_load_b32 v8, v61 offset:2080
	;; [unrolled: 1-line block ×6, first 2 shown]
	s_and_saveexec_b32 s1, s0
	s_cbranch_execz .LBB0_15
; %bb.14:
	ds_load_b32 v0, v61 offset:728
	ds_load_b32 v72, v61 offset:1768
	ds_load_b32 v66, v61 offset:2808
	ds_load_b32 v65, v61 offset:3848
	ds_load_b32 v26, v61 offset:4888
	ds_load_b32 v1, v61 offset:5928
	ds_load_b32 v101, v61 offset:6968
	s_wait_dscnt 0x6
	v_lshrrev_b32_e32 v67, 16, v0
	s_wait_dscnt 0x5
	v_lshrrev_b32_e32 v76, 16, v72
	;; [unrolled: 2-line block ×7, first 2 shown]
.LBB0_15:
	s_wait_alu 0xfffe
	s_or_b32 exec_lo, exec_lo, s1
	s_wait_dscnt 0x5
	v_lshrrev_b32_e32 v10, 16, v9
	s_wait_dscnt 0x4
	v_lshrrev_b32_e32 v25, 16, v8
	;; [unrolled: 2-line block ×3, first 2 shown]
	v_mul_f16_e32 v28, v100, v9
	s_wait_dscnt 0x2
	v_lshrrev_b32_e32 v30, 16, v6
	v_mul_f16_e32 v29, v100, v10
	s_wait_dscnt 0x1
	v_lshrrev_b32_e32 v31, 16, v4
	s_wait_dscnt 0x0
	v_lshrrev_b32_e32 v32, 16, v5
	v_fma_f16 v10, v16, v10, -v28
	v_mul_f16_e32 v28, v98, v27
	v_fmac_f16_e32 v29, v16, v9
	v_mul_f16_e32 v9, v99, v25
	v_mul_f16_e32 v16, v99, v8
	;; [unrolled: 1-line block ×4, first 2 shown]
	v_fmac_f16_e32 v28, v18, v7
	v_fmac_f16_e32 v9, v17, v8
	v_fma_f16 v8, v17, v25, -v16
	v_fma_f16 v7, v18, v27, -v33
	v_mul_f16_e32 v16, v97, v32
	v_mul_f16_e32 v17, v97, v5
	;; [unrolled: 1-line block ×4, first 2 shown]
	v_fmac_f16_e32 v34, v19, v6
	v_mul_f16_e32 v6, v96, v6
	v_fmac_f16_e32 v16, v24, v5
	v_fma_f16 v5, v24, v32, -v17
	v_fmac_f16_e32 v18, v23, v4
	v_fma_f16 v4, v23, v31, -v25
	v_fma_f16 v6, v19, v30, -v6
	v_add_f16_e32 v17, v29, v16
	v_add_f16_e32 v19, v10, v5
	v_sub_f16_e32 v5, v10, v5
	v_add_f16_e32 v10, v9, v18
	v_add_f16_e32 v23, v8, v4
	v_sub_f16_e32 v9, v9, v18
	v_sub_f16_e32 v4, v8, v4
	v_add_f16_e32 v8, v28, v34
	v_add_f16_e32 v18, v7, v6
	v_sub_f16_e32 v24, v34, v28
	;; [unrolled: 4-line block ×3, first 2 shown]
	v_lshrrev_b32_e32 v11, 16, v3
	v_sub_f16_e32 v27, v10, v17
	v_sub_f16_e32 v28, v23, v19
	;; [unrolled: 1-line block ×6, first 2 shown]
	v_add_f16_e32 v29, v24, v9
	v_add_f16_e32 v30, v6, v4
	v_sub_f16_e32 v31, v24, v9
	v_sub_f16_e32 v32, v6, v4
	v_add_f16_e32 v7, v8, v7
	v_add_f16_e32 v8, v18, v25
	v_sub_f16_e32 v9, v9, v16
	v_sub_f16_e32 v4, v4, v5
	;; [unrolled: 1-line block ×4, first 2 shown]
	v_add_f16_e32 v16, v29, v16
	v_add_f16_e32 v5, v30, v5
	;; [unrolled: 1-line block ×4, first 2 shown]
	v_mul_f16_e32 v17, 0x3a52, v17
	v_mul_f16_e32 v18, 0x3a52, v19
	;; [unrolled: 1-line block ×8, first 2 shown]
	v_fmamk_f16 v7, v7, 0xbcab, v3
	v_fmamk_f16 v8, v8, 0xbcab, v11
	;; [unrolled: 1-line block ×4, first 2 shown]
	v_fma_f16 v19, v27, 0x39e0, -v19
	v_fma_f16 v25, v28, 0x39e0, -v25
	;; [unrolled: 1-line block ×4, first 2 shown]
	v_fmamk_f16 v27, v24, 0xb574, v29
	v_fmamk_f16 v28, v6, 0xb574, v30
	v_fma_f16 v9, v9, 0xbb00, -v29
	v_fma_f16 v4, v4, 0xbb00, -v30
	;; [unrolled: 1-line block ×4, first 2 shown]
	v_add_f16_e32 v10, v10, v7
	v_add_f16_e32 v23, v23, v8
	v_fmac_f16_e32 v27, 0xb70e, v16
	v_fmac_f16_e32 v28, 0xb70e, v5
	v_add_f16_e32 v19, v19, v7
	v_add_f16_e32 v25, v25, v8
	;; [unrolled: 1-line block ×4, first 2 shown]
	v_fmac_f16_e32 v9, 0xb70e, v16
	v_fmac_f16_e32 v6, 0xb70e, v5
	;; [unrolled: 1-line block ×4, first 2 shown]
	v_add_f16_e32 v5, v28, v10
	v_sub_f16_e32 v16, v23, v27
	v_add_f16_e32 v17, v6, v7
	v_sub_f16_e32 v18, v8, v24
	v_sub_f16_e32 v29, v19, v4
	v_add_f16_e32 v30, v9, v25
	v_add_f16_e32 v4, v4, v19
	v_sub_f16_e32 v9, v25, v9
	v_sub_f16_e32 v6, v7, v6
	v_add_f16_e32 v7, v24, v8
	v_sub_f16_e32 v8, v10, v28
	v_add_f16_e32 v10, v27, v23
	v_pack_b32_f16 v3, v3, v11
	v_pack_b32_f16 v5, v5, v16
	;; [unrolled: 1-line block ×4, first 2 shown]
	v_add_nc_u32_e32 v17, 0x400, v77
	v_pack_b32_f16 v4, v4, v9
	v_pack_b32_f16 v6, v6, v7
	v_add_nc_u32_e32 v7, 0x800, v77
	v_pack_b32_f16 v8, v8, v10
	global_wb scope:SCOPE_SE
	s_barrier_signal -1
	s_barrier_wait -1
	global_inv scope:SCOPE_SE
	ds_store_2addr_b32 v77, v3, v5 offset1:130
	ds_store_2addr_b32 v17, v11, v16 offset0:4 offset1:134
	ds_store_2addr_b32 v7, v4, v6 offset0:8 offset1:138
	ds_store_b32 v77, v8 offset:3120
	s_and_saveexec_b32 s1, s0
	s_cbranch_execz .LBB0_17
; %bb.16:
	v_mul_f16_e32 v7, v82, v2
	v_mul_f16_e32 v8, v87, v102
	;; [unrolled: 1-line block ×5, first 2 shown]
	v_fmac_f16_e32 v7, v21, v1
	v_fmac_f16_e32 v8, v22, v101
	v_fma_f16 v11, v22, v102, -v11
	v_mul_f16_e32 v1, v82, v1
	v_mul_f16_e32 v22, v80, v66
	;; [unrolled: 1-line block ×5, first 2 shown]
	v_fmac_f16_e32 v3, v12, v72
	v_fma_f16 v12, v12, v76, -v18
	v_mul_f16_e32 v18, v78, v65
	v_mul_f16_e32 v23, v79, v26
	v_fma_f16 v1, v21, v2, -v1
	v_fma_f16 v2, v13, v74, -v22
	v_fmac_f16_e32 v4, v15, v26
	v_fmac_f16_e32 v5, v14, v65
	;; [unrolled: 1-line block ×3, first 2 shown]
	v_add_f16_e32 v13, v11, v12
	v_fma_f16 v14, v14, v70, -v18
	v_fma_f16 v15, v15, v69, -v23
	v_add_f16_e32 v18, v1, v2
	v_sub_f16_e32 v10, v6, v7
	v_sub_f16_e32 v16, v3, v8
	v_add_f16_e32 v3, v8, v3
	v_add_f16_e32 v22, v14, v15
	;; [unrolled: 1-line block ×4, first 2 shown]
	v_sub_f16_e32 v9, v4, v5
	v_add_f16_e32 v4, v5, v4
	v_sub_f16_e32 v24, v13, v22
	v_add_f16_e32 v23, v22, v23
	;; [unrolled: 2-line block ×3, first 2 shown]
	v_sub_f16_e32 v14, v15, v14
	v_sub_f16_e32 v1, v2, v1
	;; [unrolled: 1-line block ×6, first 2 shown]
	v_add_f16_e32 v9, v9, v10
	v_add_f16_e32 v22, v4, v22
	v_sub_f16_e32 v12, v14, v1
	v_sub_f16_e32 v10, v10, v16
	v_mul_f16_e32 v2, 0x3a52, v25
	v_sub_f16_e32 v4, v4, v6
	v_sub_f16_e32 v25, v11, v14
	v_add_f16_e32 v14, v14, v1
	v_sub_f16_e32 v1, v1, v11
	v_mul_f16_e32 v17, 0x3846, v17
	v_mul_f16_e32 v8, 0x3a52, v24
	v_add_f16_e32 v5, v67, v23
	v_mul_f16_e32 v24, 0x2b26, v7
	v_add_f16_e32 v0, v0, v22
	v_mul_f16_e32 v12, 0x3846, v12
	v_mul_f16_e32 v27, 0xbb00, v10
	v_sub_f16_e32 v13, v18, v13
	v_fmamk_f16 v15, v4, 0x2b26, v2
	v_mul_f16_e32 v4, 0x2b26, v4
	v_sub_f16_e32 v3, v6, v3
	v_add_f16_e32 v6, v14, v11
	v_mul_f16_e32 v14, 0xbb00, v1
	v_fmamk_f16 v21, v19, 0xb574, v17
	v_add_f16_e32 v9, v9, v16
	v_fmamk_f16 v7, v7, 0x2b26, v8
	v_fmamk_f16 v23, v23, 0xbcab, v5
	;; [unrolled: 1-line block ×4, first 2 shown]
	v_fma_f16 v11, v19, 0x3574, -v27
	v_fma_f16 v8, v13, 0xb9e0, -v8
	;; [unrolled: 1-line block ×8, first 2 shown]
	v_fmac_f16_e32 v21, 0xb70e, v9
	v_add_f16_e32 v7, v7, v23
	v_add_f16_e32 v15, v15, v22
	v_fmac_f16_e32 v16, 0xb70e, v6
	v_fmac_f16_e32 v11, 0xb70e, v9
	v_add_f16_e32 v8, v8, v23
	v_add_f16_e32 v4, v13, v23
	v_fmac_f16_e32 v10, 0xb70e, v9
	v_add_f16_e32 v2, v2, v22
	v_fmac_f16_e32 v14, 0xb70e, v6
	v_fmac_f16_e32 v1, 0xb70e, v6
	v_add_f16_e32 v3, v3, v22
	v_add_f16_e32 v26, v21, v7
	;; [unrolled: 1-line block ×3, first 2 shown]
	v_sub_f16_e32 v13, v4, v10
	v_add_f16_e32 v4, v10, v4
	v_sub_f16_e32 v8, v8, v11
	v_sub_f16_e32 v7, v7, v21
	v_add_f16_e32 v10, v16, v15
	v_lshlrev_b32_e32 v11, 2, v89
	v_sub_f16_e32 v12, v2, v14
	v_add_f16_e32 v17, v1, v3
	v_add_f16_e32 v2, v14, v2
	v_sub_f16_e32 v1, v3, v1
	v_sub_f16_e32 v6, v15, v16
	v_pack_b32_f16 v0, v0, v5
	v_pack_b32_f16 v3, v10, v7
	v_add_nc_u32_e32 v5, 0xe00, v11
	v_pack_b32_f16 v2, v2, v8
	v_pack_b32_f16 v1, v1, v4
	v_add_nc_u32_e32 v4, 0x1200, v11
	;; [unrolled: 3-line block ×3, first 2 shown]
	v_pack_b32_f16 v6, v6, v26
	ds_store_2addr_b32 v5, v0, v3 offset0:14 offset1:144
	ds_store_2addr_b32 v4, v2, v1 offset0:18 offset1:148
	;; [unrolled: 1-line block ×3, first 2 shown]
	ds_store_b32 v11, v6 offset:6760
.LBB0_17:
	s_wait_alu 0xfffe
	s_or_b32 exec_lo, exec_lo, s1
	v_add_nc_u32_e32 v2, 0xb00, v61
	v_add_nc_u32_e32 v1, 0x1000, v61
	;; [unrolled: 1-line block ×4, first 2 shown]
	global_wb scope:SCOPE_SE
	s_wait_dscnt 0x0
	s_barrier_signal -1
	s_barrier_wait -1
	global_inv scope:SCOPE_SE
	ds_load_2addr_b32 v[3:4], v61 offset1:182
	ds_load_2addr_b32 v[5:6], v2 offset0:24 offset1:206
	ds_load_2addr_b32 v[7:8], v1 offset0:68 offset1:250
	;; [unrolled: 1-line block ×4, first 2 shown]
	s_mov_b32 s8, 0x12012012
	s_mov_b32 s9, 0x3f420120
	s_wait_dscnt 0x2
	v_lshrrev_b32_e32 v17, 16, v7
	v_lshrrev_b32_e32 v16, 16, v6
	;; [unrolled: 1-line block ×3, first 2 shown]
	v_mul_f16_e32 v25, v94, v6
	v_mul_f16_e32 v26, v93, v7
	s_wait_dscnt 0x0
	v_lshrrev_b32_e32 v22, 16, v11
	v_lshrrev_b32_e32 v24, 16, v12
	v_mul_f16_e32 v27, v92, v8
	v_mul_f16_e32 v28, v91, v11
	;; [unrolled: 1-line block ×3, first 2 shown]
	v_fma_f16 v16, v81, v16, -v25
	v_mul_f16_e32 v25, v93, v17
	v_fma_f16 v17, v83, v17, -v26
	v_mul_f16_e32 v26, v92, v19
	v_lshrrev_b32_e32 v14, 16, v3
	v_lshrrev_b32_e32 v15, 16, v4
	;; [unrolled: 1-line block ×3, first 2 shown]
	v_fma_f16 v19, v84, v19, -v27
	v_mul_f16_e32 v27, v91, v22
	v_fmac_f16_e32 v30, v81, v6
	v_fma_f16 v6, v86, v22, -v28
	v_mul_f16_e32 v22, v90, v24
	v_fmac_f16_e32 v25, v83, v7
	v_fmac_f16_e32 v26, v84, v8
	v_mul_f16_e32 v29, v90, v12
	v_sub_f16_e32 v7, v3, v30
	v_fmac_f16_e32 v27, v86, v11
	v_fmac_f16_e32 v22, v88, v12
	v_sub_f16_e32 v8, v14, v16
	v_sub_f16_e32 v11, v4, v25
	;; [unrolled: 1-line block ×5, first 2 shown]
	v_fma_f16 v3, v3, 2.0, -v7
	v_fma_f16 v4, v4, 2.0, -v11
	;; [unrolled: 1-line block ×5, first 2 shown]
	v_pack_b32_f16 v7, v7, v8
	v_lshrrev_b32_e32 v21, 16, v10
	v_pack_b32_f16 v4, v4, v15
	v_lshrrev_b32_e32 v23, 16, v5
	v_pack_b32_f16 v9, v9, v18
	ds_store_b32 v61, v7 offset:3640
	v_pack_b32_f16 v7, v11, v12
	v_pack_b32_f16 v11, v16, v17
	v_mad_co_u64_u32 v[15:16], null, s6, v20, 0
	v_mad_co_u64_u32 v[17:18], null, s4, v55, 0
	v_fma_f16 v24, v88, v24, -v29
	v_sub_f16_e32 v19, v10, v27
	v_sub_f16_e32 v6, v21, v6
	;; [unrolled: 1-line block ×3, first 2 shown]
	v_fma_f16 v14, v14, 2.0, -v8
	v_sub_f16_e32 v24, v23, v24
	v_fma_f16 v10, v10, 2.0, -v19
	v_fma_f16 v8, v21, 2.0, -v6
	v_pack_b32_f16 v6, v19, v6
	v_mad_co_u64_u32 v[19:20], null, s7, v20, v[16:17]
	v_fma_f16 v5, v5, 2.0, -v22
	v_fma_f16 v21, v23, 2.0, -v24
	v_pack_b32_f16 v3, v3, v14
	v_pack_b32_f16 v8, v10, v8
	;; [unrolled: 1-line block ×3, first 2 shown]
	s_delay_alu instid0(VALU_DEP_4) | instskip(SKIP_2) | instid1(VALU_DEP_1)
	v_pack_b32_f16 v5, v5, v21
	v_mad_co_u64_u32 v[20:21], null, s5, v55, v[18:19]
	v_mov_b32_e32 v16, v19
	v_lshlrev_b64_e32 v[15:16], 2, v[15:16]
	s_delay_alu instid0(VALU_DEP_3)
	v_mov_b32_e32 v18, v20
	ds_store_2addr_b32 v61, v3, v4 offset1:182
	ds_store_2addr_b32 v1, v7, v11 offset0:68 offset1:250
	ds_store_2addr_b32 v13, v9, v8 offset0:44 offset1:226
	ds_store_b32 v61, v5 offset:2912
	ds_store_2addr_b32 v0, v6, v10 offset0:48 offset1:230
	global_wb scope:SCOPE_SE
	s_wait_dscnt 0x0
	s_barrier_signal -1
	s_barrier_wait -1
	global_inv scope:SCOPE_SE
	ds_load_2addr_b32 v[3:4], v61 offset1:182
	v_add_co_u32 v19, vcc_lo, s2, v15
	s_wait_alu 0xfffd
	v_add_co_ci_u32_e32 v20, vcc_lo, s3, v16, vcc_lo
	v_lshlrev_b64_e32 v[17:18], 2, v[17:18]
	s_wait_dscnt 0x0
	v_lshrrev_b32_e32 v5, 16, v3
	v_mul_f16_e32 v6, v62, v3
	v_lshrrev_b32_e32 v9, 16, v4
	v_mul_f16_e32 v7, v60, v4
	s_delay_alu instid0(VALU_DEP_4) | instskip(NEXT) | instid1(VALU_DEP_4)
	v_mul_f16_e32 v10, v62, v5
	v_fma_f16 v6, v57, v5, -v6
	s_delay_alu instid0(VALU_DEP_3) | instskip(NEXT) | instid1(VALU_DEP_3)
	v_fma_f16 v11, v58, v9, -v7
	v_fmac_f16_e32 v10, v57, v3
	s_delay_alu instid0(VALU_DEP_3)
	v_cvt_f32_f16_e32 v8, v6
	ds_load_2addr_b32 v[5:6], v13 offset0:44 offset1:226
	v_cvt_f32_f16_e32 v3, v11
	v_mul_f16_e32 v11, v60, v9
	v_cvt_f32_f16_e32 v12, v10
	v_cvt_f64_f32_e32 v[7:8], v8
	s_delay_alu instid0(VALU_DEP_4) | instskip(NEXT) | instid1(VALU_DEP_4)
	v_cvt_f64_f32_e32 v[9:10], v3
	v_fmac_f16_e32 v11, v58, v4
	s_delay_alu instid0(VALU_DEP_4) | instskip(NEXT) | instid1(VALU_DEP_2)
	v_cvt_f64_f32_e32 v[3:4], v12
	v_cvt_f32_f16_e32 v11, v11
	s_delay_alu instid0(VALU_DEP_1) | instskip(SKIP_2) | instid1(VALU_DEP_1)
	v_cvt_f64_f32_e32 v[11:12], v11
	s_wait_dscnt 0x0
	v_lshrrev_b32_e32 v22, 16, v5
	v_mul_f16_e32 v13, v59, v22
	s_delay_alu instid0(VALU_DEP_1) | instskip(SKIP_1) | instid1(VALU_DEP_2)
	v_fmac_f16_e32 v13, v56, v5
	v_mul_f16_e32 v5, v59, v5
	v_cvt_f32_f16_e32 v13, v13
	s_delay_alu instid0(VALU_DEP_2) | instskip(NEXT) | instid1(VALU_DEP_2)
	v_fma_f16 v5, v56, v22, -v5
	v_cvt_f64_f32_e32 v[13:14], v13
	s_delay_alu instid0(VALU_DEP_2)
	v_cvt_f32_f16_e32 v5, v5
	s_wait_alu 0xfffe
	v_mul_f64_e32 v[7:8], s[8:9], v[7:8]
	v_mul_f64_e32 v[9:10], s[8:9], v[9:10]
	;; [unrolled: 1-line block ×3, first 2 shown]
	v_cvt_f64_f32_e32 v[15:16], v5
	v_mul_f64_e32 v[11:12], s[8:9], v[11:12]
	v_mul_f64_e32 v[13:14], s[8:9], v[13:14]
	v_and_or_b32 v5, 0x1ff, v8, v7
	v_lshrrev_b32_e32 v7, 8, v8
	v_and_or_b32 v9, 0x1ff, v10, v9
	v_bfe_u32 v21, v8, 20, 11
	v_and_or_b32 v3, 0x1ff, v4, v3
	v_cmp_ne_u32_e32 vcc_lo, 0, v5
	v_lshrrev_b32_e32 v24, 8, v4
	v_bfe_u32 v25, v4, 20, 11
	v_bfe_u32 v23, v10, 20, 11
	v_lshrrev_b32_e32 v22, 8, v10
	s_wait_alu 0xfffd
	v_cndmask_b32_e64 v5, 0, 1, vcc_lo
	v_cmp_ne_u32_e32 vcc_lo, 0, v9
	v_sub_nc_u32_e32 v30, 0x3f1, v25
	v_and_or_b32 v11, 0x1ff, v12, v11
	v_lshrrev_b32_e32 v27, 8, v12
	v_sub_nc_u32_e32 v26, 0x3f1, v21
	s_wait_alu 0xfffd
	v_cndmask_b32_e64 v9, 0, 1, vcc_lo
	v_cmp_ne_u32_e32 vcc_lo, 0, v3
	v_bfe_u32 v28, v12, 20, 11
	v_sub_nc_u32_e32 v29, 0x3f1, v23
	v_add_nc_u32_e32 v25, 0xfffffc10, v25
	v_and_or_b32 v5, 0xffe, v7, v5
	s_wait_alu 0xfffd
	v_cndmask_b32_e64 v3, 0, 1, vcc_lo
	v_cmp_ne_u32_e32 vcc_lo, 0, v11
	v_med3_i32 v7, v26, 0, 13
	v_sub_nc_u32_e32 v26, 0x3f1, v28
	v_and_or_b32 v9, 0xffe, v22, v9
	v_and_or_b32 v3, 0xffe, v24, v3
	s_wait_alu 0xfffd
	v_cndmask_b32_e64 v11, 0, 1, vcc_lo
	v_med3_i32 v24, v30, 0, 13
	v_med3_i32 v22, v29, 0, 13
	v_or_b32_e32 v29, 0x1000, v5
	v_cmp_ne_u32_e32 vcc_lo, 0, v5
	v_and_or_b32 v11, 0xffe, v27, v11
	v_or_b32_e32 v27, 0x1000, v3
	v_lshl_or_b32 v33, v25, 12, v3
	v_add_nc_u32_e32 v21, 0xfffffc10, v21
	v_med3_i32 v26, v26, 0, 13
	v_lshrrev_b32_e32 v35, v7, v29
	v_lshrrev_b32_e32 v34, v24, v27
	v_or_b32_e32 v36, 0x1000, v11
	v_lshl_or_b32 v30, v21, 12, v5
	s_wait_alu 0xfffd
	v_cndmask_b32_e64 v5, 0, 1, vcc_lo
	v_cmp_ne_u32_e32 vcc_lo, 0, v3
	v_lshlrev_b32_e32 v24, v24, v34
	v_lshlrev_b32_e32 v7, v7, v35
	v_lshrrev_b32_e32 v39, v26, v36
	v_or_b32_e32 v31, 0x1000, v9
	s_wait_alu 0xfffd
	v_cndmask_b32_e64 v3, 0, 1, vcc_lo
	v_cmp_ne_u32_e32 vcc_lo, v24, v27
	v_add_nc_u32_e32 v28, 0xfffffc10, v28
	v_lshlrev_b32_e32 v26, v26, v39
	v_lshrrev_b32_e32 v38, v22, v31
	v_lshl_or_b32 v3, v3, 9, 0x7c00
	s_wait_alu 0xfffd
	v_cndmask_b32_e64 v24, 0, 1, vcc_lo
	v_cmp_ne_u32_e32 vcc_lo, v7, v29
	v_lshl_or_b32 v37, v28, 12, v11
	v_lshlrev_b32_e32 v22, v22, v38
	v_lshrrev_b32_e32 v4, 16, v4
	v_or_b32_e32 v24, v34, v24
	s_wait_alu 0xfffd
	v_cndmask_b32_e64 v7, 0, 1, vcc_lo
	v_cmp_ne_u32_e32 vcc_lo, v26, v36
	v_lshl_or_b32 v5, v5, 9, 0x7c00
	v_lshrrev_b32_e32 v8, 16, v8
	v_lshrrev_b32_e32 v12, 16, v12
	v_or_b32_e32 v7, v35, v7
	s_wait_alu 0xfffd
	v_cndmask_b32_e64 v26, 0, 1, vcc_lo
	v_cmp_gt_i32_e32 vcc_lo, 1, v25
	v_lshrrev_b32_e32 v10, 16, v10
	s_delay_alu instid0(VALU_DEP_3) | instskip(SKIP_3) | instid1(VALU_DEP_2)
	v_or_b32_e32 v26, v39, v26
	s_wait_alu 0xfffd
	v_cndmask_b32_e32 v24, v33, v24, vcc_lo
	v_cmp_gt_i32_e32 vcc_lo, 1, v21
	v_and_b32_e32 v27, 7, v24
	s_wait_alu 0xfffd
	v_cndmask_b32_e32 v7, v30, v7, vcc_lo
	v_cmp_ne_u32_e32 vcc_lo, v22, v31
	v_lshrrev_b32_e32 v24, 2, v24
	v_cmp_eq_u32_e64 s0, 3, v27
	s_delay_alu instid0(VALU_DEP_4)
	v_and_b32_e32 v29, 7, v7
	s_wait_alu 0xfffd
	v_cndmask_b32_e64 v22, 0, 1, vcc_lo
	v_cmp_gt_i32_e32 vcc_lo, 1, v28
	v_add_nc_u32_e32 v23, 0xfffffc10, v23
	v_lshrrev_b32_e32 v7, 2, v7
	v_cmp_lt_i32_e64 s1, 5, v29
	v_cmp_eq_u32_e64 s2, 3, v29
	s_wait_alu 0xfffd
	v_cndmask_b32_e32 v26, v37, v26, vcc_lo
	v_cmp_lt_i32_e32 vcc_lo, 5, v27
	v_lshl_or_b32 v32, v23, 12, v9
	s_delay_alu instid0(VALU_DEP_3)
	v_and_b32_e32 v27, 7, v26
	s_or_b32 vcc_lo, s0, vcc_lo
	v_cmp_gt_i32_e64 s0, 31, v21
	s_wait_alu 0xfffe
	v_add_co_ci_u32_e32 v24, vcc_lo, 0, v24, vcc_lo
	s_or_b32 vcc_lo, s2, s1
	v_cmp_eq_u32_e64 s1, 0x40f, v21
	s_wait_alu 0xfffe
	v_add_co_ci_u32_e32 v7, vcc_lo, 0, v7, vcc_lo
	v_cmp_gt_i32_e32 vcc_lo, 31, v25
	s_mul_u64 s[2:3], s[4:5], 0x2d8
	s_delay_alu instid0(VALU_DEP_2)
	v_cndmask_b32_e64 v7, 0x7c00, v7, s0
	v_cmp_eq_u32_e64 s0, 0x40f, v25
	s_wait_alu 0xfffd
	v_cndmask_b32_e32 v24, 0x7c00, v24, vcc_lo
	v_cmp_lt_i32_e32 vcc_lo, 5, v27
	v_cndmask_b32_e64 v5, v7, v5, s1
	s_wait_alu 0xf1ff
	s_delay_alu instid0(VALU_DEP_3)
	v_cndmask_b32_e64 v3, v24, v3, s0
	v_cmp_eq_u32_e64 s0, 3, v27
	v_lshrrev_b32_e32 v24, 2, v26
	v_and_or_b32 v5, 0x8000, v8, v5
	v_or_b32_e32 v8, v38, v22
	v_and_or_b32 v3, 0x8000, v4, v3
	s_or_b32 vcc_lo, s0, vcc_lo
	v_lshrrev_b32_e32 v22, 16, v6
	s_wait_alu 0xfffe
	v_add_co_ci_u32_e32 v4, vcc_lo, 0, v24, vcc_lo
	v_cmp_ne_u32_e32 vcc_lo, 0, v11
	v_and_b32_e32 v3, 0xffff, v3
	v_bfe_u32 v24, v14, 20, 11
	s_wait_alu 0xfffd
	v_cndmask_b32_e64 v7, 0, 1, vcc_lo
	v_cmp_gt_i32_e32 vcc_lo, 31, v28
	v_lshl_or_b32 v21, v5, 16, v3
	s_delay_alu instid0(VALU_DEP_3)
	v_lshl_or_b32 v7, v7, 9, 0x7c00
	s_wait_alu 0xfffd
	v_cndmask_b32_e32 v11, 0x7c00, v4, vcc_lo
	v_cmp_gt_i32_e32 vcc_lo, 1, v23
	v_mul_f64_e32 v[3:4], s[8:9], v[15:16]
	v_mul_f16_e32 v15, v54, v22
	v_lshrrev_b32_e32 v16, 8, v14
	s_wait_alu 0xfffd
	v_cndmask_b32_e32 v5, v32, v8, vcc_lo
	v_and_or_b32 v8, 0x1ff, v14, v13
	v_fmac_f16_e32 v15, v53, v6
	v_mul_f16_e32 v6, v54, v6
	v_lshrrev_b32_e32 v14, 16, v14
	v_and_b32_e32 v13, 7, v5
	v_cmp_ne_u32_e32 vcc_lo, 0, v8
	v_lshrrev_b32_e32 v5, 2, v5
	v_fma_f16 v6, v53, v22, -v6
	s_delay_alu instid0(VALU_DEP_4) | instskip(SKIP_3) | instid1(VALU_DEP_2)
	v_cmp_eq_u32_e64 s0, 3, v13
	s_wait_alu 0xfffd
	v_cndmask_b32_e64 v8, 0, 1, vcc_lo
	v_cmp_eq_u32_e32 vcc_lo, 0x40f, v28
	v_and_or_b32 v16, 0xffe, v16, v8
	s_wait_alu 0xfffd
	v_cndmask_b32_e32 v11, v11, v7, vcc_lo
	v_cmp_lt_i32_e32 vcc_lo, 5, v13
	v_sub_nc_u32_e32 v7, 0x3f1, v24
	v_cvt_f32_f16_e32 v8, v15
	v_or_b32_e32 v13, 0x1000, v16
	v_and_or_b32 v11, 0x8000, v12, v11
	s_or_b32 vcc_lo, s0, vcc_lo
	v_med3_i32 v15, v7, 0, 13
	s_wait_alu 0xfffe
	v_add_co_ci_u32_e32 v5, vcc_lo, 0, v5, vcc_lo
	v_cmp_ne_u32_e32 vcc_lo, 0, v9
	v_cvt_f64_f32_e32 v[7:8], v8
	v_lshrrev_b32_e32 v25, v15, v13
	v_and_b32_e32 v11, 0xffff, v11
	s_wait_alu 0xfffd
	v_cndmask_b32_e64 v9, 0, 1, vcc_lo
	v_cmp_gt_i32_e32 vcc_lo, 31, v23
	v_lshlrev_b32_e32 v15, v15, v25
	v_and_or_b32 v3, 0x1ff, v4, v3
	v_lshrrev_b32_e32 v22, 8, v4
	v_lshl_or_b32 v9, v9, 9, 0x7c00
	s_wait_alu 0xfffd
	v_cndmask_b32_e32 v5, 0x7c00, v5, vcc_lo
	v_cmp_eq_u32_e32 vcc_lo, 0x40f, v23
	v_bfe_u32 v23, v4, 20, 11
	v_lshrrev_b32_e32 v4, 16, v4
	s_wait_alu 0xfffd
	v_cndmask_b32_e32 v9, v5, v9, vcc_lo
	v_cmp_ne_u32_e32 vcc_lo, v15, v13
	s_wait_alu 0xfffd
	v_cndmask_b32_e64 v5, 0, 1, vcc_lo
	v_cmp_ne_u32_e32 vcc_lo, 0, v3
	s_delay_alu instid0(VALU_DEP_2) | instskip(SKIP_4) | instid1(VALU_DEP_3)
	v_or_b32_e32 v13, v25, v5
	v_add_nc_u32_e32 v12, 0xfffffc10, v24
	v_cvt_f32_f16_e32 v5, v6
	s_wait_alu 0xfffd
	v_cndmask_b32_e64 v3, 0, 1, vcc_lo
	v_lshl_or_b32 v15, v12, 12, v16
	s_delay_alu instid0(VALU_DEP_3)
	v_cvt_f64_f32_e32 v[5:6], v5
	v_cmp_gt_i32_e32 vcc_lo, 1, v12
	v_mul_f64_e32 v[7:8], s[8:9], v[7:8]
	s_wait_alu 0xfffd
	v_cndmask_b32_e32 v13, v15, v13, vcc_lo
	v_and_or_b32 v15, 0xffe, v22, v3
	v_sub_nc_u32_e32 v3, 0x3f1, v23
	v_and_or_b32 v22, 0x8000, v10, v9
	v_add_co_u32 v9, vcc_lo, v19, v17
	v_and_b32_e32 v24, 7, v13
	v_or_b32_e32 v25, 0x1000, v15
	v_med3_i32 v26, v3, 0, 13
	ds_load_2addr_b32 v[2:3], v2 offset0:24 offset1:206
	s_wait_alu 0xfffd
	v_add_co_ci_u32_e32 v10, vcc_lo, v20, v18, vcc_lo
	v_cmp_lt_i32_e32 vcc_lo, 5, v24
	v_cmp_eq_u32_e64 s0, 3, v24
	v_lshl_or_b32 v18, v22, 16, v11
	v_lshrrev_b32_e32 v11, 2, v13
	v_lshrrev_b32_e32 v17, v26, v25
	v_add_nc_u32_e32 v19, 0xfffffc10, v23
	s_or_b32 vcc_lo, s0, vcc_lo
	s_wait_alu 0xfffe
	v_add_co_ci_u32_e32 v11, vcc_lo, 0, v11, vcc_lo
	v_lshlrev_b32_e32 v13, v26, v17
	v_cmp_ne_u32_e32 vcc_lo, 0, v16
	s_wait_alu 0xfffd
	v_cndmask_b32_e64 v16, 0, 1, vcc_lo
	s_delay_alu instid0(VALU_DEP_3)
	v_cmp_ne_u32_e32 vcc_lo, v13, v25
	s_wait_dscnt 0x0
	v_lshrrev_b32_e32 v20, 16, v2
	v_mul_f64_e32 v[5:6], s[8:9], v[5:6]
	v_lshl_or_b32 v16, v16, 9, 0x7c00
	s_wait_alu 0xfffd
	v_cndmask_b32_e64 v13, 0, 1, vcc_lo
	v_cmp_gt_i32_e32 vcc_lo, 31, v12
	v_mul_f16_e32 v22, v52, v20
	v_and_or_b32 v7, 0x1ff, v8, v7
	s_delay_alu instid0(VALU_DEP_4)
	v_or_b32_e32 v13, v17, v13
	s_wait_alu 0xfffd
	v_cndmask_b32_e32 v11, 0x7c00, v11, vcc_lo
	v_lshl_or_b32 v17, v19, 12, v15
	v_cmp_gt_i32_e32 vcc_lo, 1, v19
	v_fmac_f16_e32 v22, v51, v2
	v_cmp_ne_u32_e64 s1, 0, v7
	v_mul_f16_e32 v2, v52, v2
	s_wait_alu 0xfffd
	v_cndmask_b32_e32 v17, v17, v13, vcc_lo
	v_cmp_eq_u32_e32 vcc_lo, 0x40f, v12
	v_cvt_f32_f16_e32 v22, v22
	s_wait_alu 0xf1ff
	v_cndmask_b32_e64 v7, 0, 1, s1
	v_fma_f16 v2, v51, v20, -v2
	s_wait_alu 0xfffd
	v_dual_cndmask_b32 v13, v11, v16 :: v_dual_and_b32 v16, 7, v17
	v_add_co_u32 v11, vcc_lo, v9, s2
	s_wait_alu 0xfffd
	v_add_co_ci_u32_e32 v12, vcc_lo, s3, v10, vcc_lo
	s_delay_alu instid0(VALU_DEP_3)
	v_and_or_b32 v23, 0x8000, v14, v13
	v_cvt_f64_f32_e32 v[13:14], v22
	v_cmp_lt_i32_e32 vcc_lo, 5, v16
	v_cmp_eq_u32_e64 s0, 3, v16
	v_lshrrev_b32_e32 v16, 2, v17
	v_lshrrev_b32_e32 v17, 8, v8
	v_bfe_u32 v22, v8, 20, 11
	v_cvt_f32_f16_e32 v2, v2
	s_or_b32 vcc_lo, s0, vcc_lo
	s_clause 0x1
	global_store_b32 v[9:10], v21, off
	global_store_b32 v[11:12], v18, off
	s_wait_alu 0xfffe
	v_add_co_ci_u32_e32 v16, vcc_lo, 0, v16, vcc_lo
	v_and_or_b32 v7, 0xffe, v17, v7
	v_sub_nc_u32_e32 v17, 0x3f1, v22
	v_cmp_ne_u32_e32 vcc_lo, 0, v15
	v_and_or_b32 v5, 0x1ff, v6, v5
	v_bfe_u32 v25, v6, 20, 11
	v_or_b32_e32 v24, 0x1000, v7
	v_med3_i32 v17, v17, 0, 13
	s_wait_alu 0xfffd
	v_cndmask_b32_e64 v15, 0, 1, vcc_lo
	v_cmp_gt_i32_e32 vcc_lo, 31, v19
	v_add_nc_u32_e32 v22, 0xfffffc10, v22
	v_add_nc_u32_e32 v21, 0xfffffc10, v25
	v_lshrrev_b32_e32 v20, v17, v24
	v_lshl_or_b32 v15, v15, 9, 0x7c00
	s_wait_alu 0xfffd
	v_cndmask_b32_e32 v16, 0x7c00, v16, vcc_lo
	v_cmp_eq_u32_e32 vcc_lo, 0x40f, v19
	v_lshlrev_b32_e32 v17, v17, v20
	s_wait_alu 0xfffd
	s_delay_alu instid0(VALU_DEP_3)
	v_cndmask_b32_e32 v19, v16, v15, vcc_lo
	v_cmp_ne_u32_e32 vcc_lo, 0, v5
	v_cvt_f64_f32_e32 v[15:16], v2
	v_lshrrev_b32_e32 v2, 8, v6
	v_lshrrev_b32_e32 v6, 16, v6
	s_wait_alu 0xfffd
	v_cndmask_b32_e64 v5, 0, 1, vcc_lo
	v_cmp_ne_u32_e32 vcc_lo, v17, v24
	v_mul_f64_e32 v[13:14], s[8:9], v[13:14]
	s_delay_alu instid0(VALU_DEP_3)
	v_and_or_b32 v2, 0xffe, v2, v5
	s_wait_alu 0xfffd
	v_cndmask_b32_e64 v17, 0, 1, vcc_lo
	v_sub_nc_u32_e32 v5, 0x3f1, v25
	v_cmp_gt_i32_e32 vcc_lo, 1, v22
	v_or_b32_e32 v24, 0x1000, v2
	s_delay_alu instid0(VALU_DEP_4) | instskip(SKIP_3) | instid1(VALU_DEP_2)
	v_or_b32_e32 v17, v20, v17
	v_lshl_or_b32 v20, v22, 12, v7
	v_med3_i32 v5, v5, 0, 13
	s_wait_alu 0xfffd
	v_cndmask_b32_e32 v17, v20, v17, vcc_lo
	s_delay_alu instid0(VALU_DEP_2) | instskip(NEXT) | instid1(VALU_DEP_2)
	v_lshrrev_b32_e32 v20, v5, v24
	v_and_b32_e32 v9, 7, v17
	s_delay_alu instid0(VALU_DEP_2) | instskip(SKIP_2) | instid1(VALU_DEP_3)
	v_lshlrev_b32_e32 v10, v5, v20
	v_and_or_b32 v4, 0x8000, v4, v19
	v_and_b32_e32 v19, 0xffff, v23
	v_cmp_ne_u32_e64 s0, v10, v24
	v_lshrrev_b32_e32 v24, 16, v8
	s_delay_alu instid0(VALU_DEP_3)
	v_lshl_or_b32 v18, v4, 16, v19
	v_add_co_u32 v4, vcc_lo, v11, s2
	s_wait_alu 0xfffd
	v_add_co_ci_u32_e32 v5, vcc_lo, s3, v12, vcc_lo
	v_cmp_lt_i32_e32 vcc_lo, 5, v9
	s_wait_alu 0xf1ff
	v_cndmask_b32_e64 v10, 0, 1, s0
	v_cmp_eq_u32_e64 s0, 3, v9
	v_lshrrev_b32_e32 v12, 2, v17
	v_lshrrev_b32_e32 v19, 16, v3
	v_and_or_b32 v13, 0x1ff, v14, v13
	v_or_b32_e32 v17, v20, v10
	s_or_b32 vcc_lo, s0, vcc_lo
	v_lshl_or_b32 v20, v21, 12, v2
	s_wait_alu 0xfffe
	v_add_co_ci_u32_e32 v12, vcc_lo, 0, v12, vcc_lo
	v_cmp_gt_i32_e32 vcc_lo, 1, v21
	v_mul_f16_e32 v11, v50, v19
	v_mul_f64_e32 v[9:10], s[8:9], v[15:16]
	v_bfe_u32 v23, v14, 20, 11
	global_store_b32 v[4:5], v18, off
	s_wait_alu 0xfffd
	v_cndmask_b32_e32 v15, v20, v17, vcc_lo
	v_cmp_gt_i32_e32 vcc_lo, 31, v22
	v_fmac_f16_e32 v11, v49, v3
	v_lshrrev_b32_e32 v20, 8, v14
	v_mul_f16_e32 v3, v50, v3
	s_wait_alu 0xfffd
	v_dual_cndmask_b32 v16, 0x7c00, v12 :: v_dual_and_b32 v17, 7, v15
	v_cmp_ne_u32_e32 vcc_lo, 0, v13
	v_cvt_f32_f16_e32 v11, v11
	v_lshrrev_b32_e32 v15, 2, v15
	s_delay_alu instid0(VALU_DEP_4)
	v_cmp_eq_u32_e64 s0, 3, v17
	v_lshrrev_b32_e32 v14, 16, v14
	s_wait_alu 0xfffd
	v_cndmask_b32_e64 v13, 0, 1, vcc_lo
	v_cmp_ne_u32_e32 vcc_lo, 0, v7
	v_cvt_f64_f32_e32 v[11:12], v11
	s_delay_alu instid0(VALU_DEP_3)
	v_and_or_b32 v13, 0xffe, v20, v13
	s_wait_alu 0xfffd
	v_cndmask_b32_e64 v7, 0, 1, vcc_lo
	v_cmp_lt_i32_e32 vcc_lo, 5, v17
	v_sub_nc_u32_e32 v20, 0x3f1, v23
	v_add_nc_u32_e32 v23, 0xfffffc10, v23
	v_or_b32_e32 v17, 0x1000, v13
	v_lshl_or_b32 v7, v7, 9, 0x7c00
	s_or_b32 vcc_lo, s0, vcc_lo
	v_med3_i32 v20, v20, 0, 13
	s_wait_alu 0xfffe
	v_add_co_ci_u32_e32 v15, vcc_lo, 0, v15, vcc_lo
	v_cmp_eq_u32_e32 vcc_lo, 0x40f, v22
	s_delay_alu instid0(VALU_DEP_3) | instskip(SKIP_3) | instid1(VALU_DEP_3)
	v_lshrrev_b32_e32 v22, v20, v17
	s_wait_alu 0xfffd
	v_cndmask_b32_e32 v16, v16, v7, vcc_lo
	v_cmp_gt_i32_e32 vcc_lo, 31, v21
	v_lshlrev_b32_e32 v7, v20, v22
	v_and_or_b32 v8, 0x1ff, v10, v9
	v_lshrrev_b32_e32 v20, 8, v10
	v_bfe_u32 v25, v10, 20, 11
	s_wait_alu 0xfffd
	v_cndmask_b32_e32 v15, 0x7c00, v15, vcc_lo
	v_cmp_ne_u32_e32 vcc_lo, 0, v2
	v_fma_f16 v2, v49, v19, -v3
	v_lshrrev_b32_e32 v10, 16, v10
	s_wait_alu 0xfffd
	v_cndmask_b32_e64 v9, 0, 1, vcc_lo
	v_cmp_ne_u32_e32 vcc_lo, v7, v17
	v_cvt_f32_f16_e32 v7, v2
	s_delay_alu instid0(VALU_DEP_3)
	v_lshl_or_b32 v9, v9, 9, 0x7c00
	s_wait_alu 0xfffd
	v_cndmask_b32_e64 v17, 0, 1, vcc_lo
	v_cmp_ne_u32_e32 vcc_lo, 0, v8
	v_mul_f64_e32 v[2:3], s[8:9], v[11:12]
	v_cvt_f64_f32_e32 v[7:8], v7
	v_sub_nc_u32_e32 v11, 0x3f1, v25
	v_or_b32_e32 v12, v22, v17
	s_wait_alu 0xfffd
	v_cndmask_b32_e64 v19, 0, 1, vcc_lo
	v_cmp_eq_u32_e32 vcc_lo, 0x40f, v21
	v_lshl_or_b32 v17, v23, 12, v13
	v_med3_i32 v22, v11, 0, 13
	s_delay_alu instid0(VALU_DEP_4) | instskip(SKIP_3) | instid1(VALU_DEP_3)
	v_and_or_b32 v19, 0xffe, v20, v19
	s_wait_alu 0xfffd
	v_cndmask_b32_e32 v9, v15, v9, vcc_lo
	v_cmp_gt_i32_e32 vcc_lo, 1, v23
	v_or_b32_e32 v20, 0x1000, v19
	s_delay_alu instid0(VALU_DEP_3)
	v_and_or_b32 v18, 0x8000, v6, v9
	s_wait_alu 0xfffd
	v_cndmask_b32_e32 v15, v17, v12, vcc_lo
	ds_load_2addr_b32 v[11:12], v1 offset0:68 offset1:250
	v_and_or_b32 v1, 0x8000, v24, v16
	v_lshrrev_b32_e32 v17, v22, v20
	v_add_nc_u32_e32 v9, 0xfffffc10, v25
	v_and_b32_e32 v16, 7, v15
	s_delay_alu instid0(VALU_DEP_4) | instskip(NEXT) | instid1(VALU_DEP_4)
	v_and_b32_e32 v21, 0xffff, v1
	v_lshlrev_b32_e32 v6, v22, v17
	v_lshrrev_b32_e32 v1, 2, v15
	s_delay_alu instid0(VALU_DEP_4) | instskip(SKIP_3) | instid1(VALU_DEP_3)
	v_cmp_lt_i32_e32 vcc_lo, 5, v16
	v_cmp_eq_u32_e64 s0, 3, v16
	v_lshl_or_b32 v18, v18, 16, v21
	v_cmp_ne_u32_e64 s1, v6, v20
	s_or_b32 vcc_lo, s0, vcc_lo
	s_wait_alu 0xfffe
	v_add_co_ci_u32_e32 v15, vcc_lo, 0, v1, vcc_lo
	s_delay_alu instid0(VALU_DEP_2)
	v_cndmask_b32_e64 v6, 0, 1, s1
	v_cmp_ne_u32_e32 vcc_lo, 0, v13
	s_wait_dscnt 0x0
	v_lshrrev_b32_e32 v16, 16, v11
	v_cmp_eq_u32_e64 s1, 0x40f, v23
	v_lshrrev_b32_e32 v20, 8, v3
	v_or_b32_e32 v1, v17, v6
	v_lshl_or_b32 v6, v9, 12, v19
	s_wait_alu 0xfffd
	v_cndmask_b32_e64 v13, 0, 1, vcc_lo
	v_cmp_gt_i32_e32 vcc_lo, 1, v9
	v_bfe_u32 v22, v3, 20, 11
	s_delay_alu instid0(VALU_DEP_3)
	v_lshl_or_b32 v13, v13, 9, 0x7c00
	s_wait_alu 0xfffd
	v_cndmask_b32_e32 v17, v6, v1, vcc_lo
	v_and_or_b32 v6, 0x1ff, v3, v2
	v_mul_f64_e32 v[1:2], s[8:9], v[7:8]
	v_cmp_gt_i32_e32 vcc_lo, 31, v23
	v_mul_f16_e32 v7, v48, v16
	v_lshrrev_b32_e32 v3, 16, v3
	s_wait_alu 0xfffd
	v_cndmask_b32_e32 v8, 0x7c00, v15, vcc_lo
	v_cmp_ne_u32_e32 vcc_lo, 0, v6
	v_and_b32_e32 v15, 7, v17
	v_fmac_f16_e32 v7, v47, v11
	v_mul_f16_e32 v11, v48, v11
	s_wait_alu 0xf1ff
	v_cndmask_b32_e64 v8, v8, v13, s1
	s_wait_alu 0xfffd
	v_cndmask_b32_e64 v6, 0, 1, vcc_lo
	v_cmp_lt_i32_e32 vcc_lo, 5, v15
	v_cvt_f32_f16_e32 v7, v7
	v_cmp_eq_u32_e64 s0, 3, v15
	v_lshrrev_b32_e32 v13, 2, v17
	v_and_or_b32 v15, 0xffe, v20, v6
	v_sub_nc_u32_e32 v20, 0x3f1, v22
	v_cvt_f64_f32_e32 v[6:7], v7
	s_or_b32 vcc_lo, s0, vcc_lo
	v_and_or_b32 v14, 0x8000, v14, v8
	s_wait_alu 0xfffe
	v_add_co_ci_u32_e32 v13, vcc_lo, 0, v13, vcc_lo
	v_or_b32_e32 v17, 0x1000, v15
	v_med3_i32 v20, v20, 0, 13
	v_cmp_ne_u32_e32 vcc_lo, 0, v19
	s_delay_alu instid0(VALU_DEP_2) | instskip(SKIP_3) | instid1(VALU_DEP_3)
	v_lshrrev_b32_e32 v23, v20, v17
	s_wait_alu 0xfffd
	v_cndmask_b32_e64 v19, 0, 1, vcc_lo
	v_cmp_gt_i32_e32 vcc_lo, 31, v9
	v_lshlrev_b32_e32 v8, v20, v23
	s_delay_alu instid0(VALU_DEP_3)
	v_lshl_or_b32 v19, v19, 9, 0x7c00
	s_wait_alu 0xfffd
	v_cndmask_b32_e32 v13, 0x7c00, v13, vcc_lo
	v_cmp_eq_u32_e32 vcc_lo, 0x40f, v9
	v_fma_f16 v9, v47, v16, -v11
	v_and_or_b32 v1, 0x1ff, v2, v1
	v_add_nc_u32_e32 v16, 0xfffffc10, v22
	v_lshrrev_b32_e32 v24, 16, v2
	s_wait_alu 0xfffd
	v_cndmask_b32_e32 v13, v13, v19, vcc_lo
	v_cmp_ne_u32_e32 vcc_lo, v8, v17
	v_cvt_f32_f16_e32 v8, v9
	v_lshrrev_b32_e32 v17, 8, v2
	v_bfe_u32 v19, v2, 20, 11
	v_lshl_or_b32 v20, v16, 12, v15
	s_wait_alu 0xfffd
	v_cndmask_b32_e64 v11, 0, 1, vcc_lo
	v_cmp_ne_u32_e32 vcc_lo, 0, v1
	v_cvt_f64_f32_e32 v[8:9], v8
	v_and_or_b32 v10, 0x8000, v10, v13
	v_and_b32_e32 v13, 0xffff, v14
	v_or_b32_e32 v11, v23, v11
	s_wait_alu 0xfffd
	v_cndmask_b32_e64 v1, 0, 1, vcc_lo
	v_cmp_gt_i32_e32 vcc_lo, 1, v16
	v_mul_f64_e32 v[6:7], s[8:9], v[6:7]
	v_lshl_or_b32 v22, v10, 16, v13
	s_delay_alu instid0(VALU_DEP_4) | instskip(SKIP_2) | instid1(VALU_DEP_2)
	v_and_or_b32 v1, 0xffe, v17, v1
	v_sub_nc_u32_e32 v17, 0x3f1, v19
	v_add_nc_u32_e32 v19, 0xfffffc10, v19
	v_med3_i32 v17, v17, 0, 13
	s_wait_alu 0xfffd
	v_cndmask_b32_e32 v11, v20, v11, vcc_lo
	v_or_b32_e32 v20, 0x1000, v1
	v_add_co_u32 v4, vcc_lo, v4, s2
	s_wait_alu 0xfffd
	v_add_co_ci_u32_e32 v5, vcc_lo, s3, v5, vcc_lo
	s_delay_alu instid0(VALU_DEP_3) | instskip(NEXT) | instid1(VALU_DEP_1)
	v_lshrrev_b32_e32 v21, v17, v20
	v_lshlrev_b32_e32 v10, v17, v21
	v_and_b32_e32 v14, 7, v11
	v_lshrrev_b32_e32 v11, 2, v11
	v_lshrrev_b32_e32 v17, 16, v12
	s_delay_alu instid0(VALU_DEP_4) | instskip(NEXT) | instid1(VALU_DEP_4)
	v_cmp_ne_u32_e64 s1, v10, v20
	v_cmp_lt_i32_e32 vcc_lo, 5, v14
	v_cmp_eq_u32_e64 s0, 3, v14
	s_delay_alu instid0(VALU_DEP_4)
	v_mul_f16_e32 v13, v46, v17
	v_lshl_or_b32 v14, v19, 12, v1
	s_wait_alu 0xf1ff
	v_cndmask_b32_e64 v10, 0, 1, s1
	v_mul_f64_e32 v[8:9], s[8:9], v[8:9]
	s_or_b32 vcc_lo, s0, vcc_lo
	v_fmac_f16_e32 v13, v45, v12
	s_wait_alu 0xfffe
	v_add_co_ci_u32_e32 v11, vcc_lo, 0, v11, vcc_lo
	v_cmp_ne_u32_e32 vcc_lo, 0, v15
	v_or_b32_e32 v10, v21, v10
	v_and_or_b32 v6, 0x1ff, v7, v6
	v_mul_f16_e32 v12, v46, v12
	s_wait_alu 0xfffd
	v_cndmask_b32_e64 v15, 0, 1, vcc_lo
	v_cmp_gt_i32_e32 vcc_lo, 1, v19
	v_cmp_ne_u32_e64 s0, 0, v6
	s_delay_alu instid0(VALU_DEP_3)
	v_lshl_or_b32 v15, v15, 9, 0x7c00
	s_wait_alu 0xfffd
	v_cndmask_b32_e32 v20, v14, v10, vcc_lo
	v_cvt_f32_f16_e32 v10, v13
	v_cmp_gt_i32_e32 vcc_lo, 31, v16
	s_wait_alu 0xf1ff
	v_cndmask_b32_e64 v6, 0, 1, s0
	v_and_b32_e32 v23, 7, v20
	v_lshrrev_b32_e32 v20, 2, v20
	s_wait_alu 0xfffd
	v_cndmask_b32_e32 v21, 0x7c00, v11, vcc_lo
	v_cvt_f64_f32_e32 v[10:11], v10
	v_add_co_u32 v13, vcc_lo, v4, s2
	s_wait_alu 0xfffd
	v_add_co_ci_u32_e32 v14, vcc_lo, s3, v5, vcc_lo
	v_cmp_eq_u32_e32 vcc_lo, 0x40f, v16
	v_cmp_eq_u32_e64 s0, 3, v23
	v_lshrrev_b32_e32 v16, 8, v7
	s_wait_alu 0xfffd
	v_cndmask_b32_e32 v15, v21, v15, vcc_lo
	v_cmp_lt_i32_e32 vcc_lo, 5, v23
	v_bfe_u32 v21, v7, 20, 11
	v_and_or_b32 v23, 0xffe, v16, v6
	v_and_or_b32 v8, 0x1ff, v9, v8
	;; [unrolled: 1-line block ×3, first 2 shown]
	s_or_b32 vcc_lo, s0, vcc_lo
	v_sub_nc_u32_e32 v6, 0x3f1, v21
	s_wait_alu 0xfffe
	v_add_co_ci_u32_e32 v16, vcc_lo, 0, v20, vcc_lo
	v_cmp_ne_u32_e32 vcc_lo, 0, v1
	v_or_b32_e32 v20, 0x1000, v23
	v_med3_i32 v6, v6, 0, 13
	v_bfe_u32 v25, v9, 20, 11
	v_and_b32_e32 v3, 0xffff, v3
	s_wait_alu 0xfffd
	v_cndmask_b32_e64 v1, 0, 1, vcc_lo
	v_cmp_gt_i32_e32 vcc_lo, 31, v19
	v_lshrrev_b32_e32 v15, v6, v20
	v_lshrrev_b32_e32 v7, 16, v7
	s_delay_alu instid0(VALU_DEP_4) | instskip(SKIP_4) | instid1(VALU_DEP_2)
	v_lshl_or_b32 v1, v1, 9, 0x7c00
	s_wait_alu 0xfffd
	v_cndmask_b32_e32 v16, 0x7c00, v16, vcc_lo
	v_cmp_eq_u32_e32 vcc_lo, 0x40f, v19
	s_wait_alu 0xfffd
	v_dual_cndmask_b32 v19, v16, v1 :: v_dual_lshlrev_b32 v6, v6, v15
	v_cmp_ne_u32_e32 vcc_lo, 0, v8
	v_lshrrev_b32_e32 v16, 8, v9
	v_mul_f64_e32 v[1:2], s[8:9], v[10:11]
	v_fma_f16 v10, v45, v17, -v12
	v_add_nc_u32_e32 v12, 0xfffffc10, v21
	s_wait_alu 0xfffd
	v_cndmask_b32_e64 v8, 0, 1, vcc_lo
	v_cmp_ne_u32_e32 vcc_lo, v6, v20
	v_sub_nc_u32_e32 v17, 0x3f1, v25
	v_and_or_b32 v19, 0x8000, v24, v19
	v_cmp_eq_u32_e64 s1, 0x40f, v12
	v_and_or_b32 v8, 0xffe, v16, v8
	s_wait_alu 0xfffd
	v_cndmask_b32_e64 v6, 0, 1, vcc_lo
	v_cvt_f32_f16_e32 v16, v10
	ds_load_2addr_b32 v[10:11], v0 offset0:48 offset1:230
	v_med3_i32 v17, v17, 0, 13
	v_or_b32_e32 v20, 0x1000, v8
	v_or_b32_e32 v0, v15, v6
	v_lshl_or_b32 v6, v12, 12, v23
	v_cvt_f64_f32_e32 v[15:16], v16
	v_cmp_gt_i32_e32 vcc_lo, 1, v12
	s_clause 0x1
	global_store_b32 v[4:5], v18, off
	global_store_b32 v[13:14], v22, off
	v_lshl_or_b32 v18, v19, 16, v3
	v_lshrrev_b32_e32 v9, 16, v9
	s_wait_alu 0xfffd
	v_cndmask_b32_e32 v0, v6, v0, vcc_lo
	v_lshrrev_b32_e32 v6, v17, v20
	v_add_co_u32 v3, vcc_lo, v13, s2
	s_wait_alu 0xfffd
	v_add_co_ci_u32_e32 v4, vcc_lo, s3, v14, vcc_lo
	s_delay_alu instid0(VALU_DEP_3)
	v_lshlrev_b32_e32 v17, v17, v6
	v_and_b32_e32 v5, 7, v0
	v_lshrrev_b32_e32 v0, 2, v0
	s_wait_dscnt 0x0
	v_lshrrev_b32_e32 v13, 16, v10
	v_cmp_ne_u32_e64 s0, v17, v20
	v_cmp_lt_i32_e32 vcc_lo, 5, v5
	v_add_nc_u32_e32 v17, 0xfffffc10, v25
	s_delay_alu instid0(VALU_DEP_4)
	v_mul_f16_e32 v19, v44, v13
	s_wait_alu 0xf1ff
	v_cndmask_b32_e64 v14, 0, 1, s0
	v_cmp_eq_u32_e64 s0, 3, v5
	v_and_or_b32 v1, 0x1ff, v2, v1
	v_fmac_f16_e32 v19, v43, v10
	v_lshrrev_b32_e32 v21, 8, v2
	v_or_b32_e32 v5, v6, v14
	s_or_b32 vcc_lo, s0, vcc_lo
	v_lshl_or_b32 v6, v17, 12, v8
	s_wait_alu 0xfffe
	v_add_co_ci_u32_e32 v14, vcc_lo, 0, v0, vcc_lo
	v_cmp_gt_i32_e32 vcc_lo, 1, v17
	v_cvt_f32_f16_e32 v0, v19
	v_mul_f16_e32 v10, v44, v10
	s_wait_alu 0xfffd
	v_cndmask_b32_e32 v19, v6, v5, vcc_lo
	v_cmp_ne_u32_e32 vcc_lo, 0, v1
	v_cvt_f64_f32_e32 v[0:1], v0
	v_mul_f64_e32 v[5:6], s[8:9], v[15:16]
	v_bfe_u32 v15, v2, 20, 11
	v_and_b32_e32 v22, 7, v19
	s_wait_alu 0xfffd
	v_cndmask_b32_e64 v20, 0, 1, vcc_lo
	v_cmp_ne_u32_e32 vcc_lo, 0, v23
	v_lshrrev_b32_e32 v19, 2, v19
	v_fma_f16 v10, v43, v13, -v10
	v_cmp_eq_u32_e64 s0, 3, v22
	v_and_or_b32 v20, 0xffe, v21, v20
	s_wait_alu 0xfffd
	v_cndmask_b32_e64 v16, 0, 1, vcc_lo
	v_cmp_gt_i32_e32 vcc_lo, 31, v12
	v_sub_nc_u32_e32 v21, 0x3f1, v15
	v_add_nc_u32_e32 v15, 0xfffffc10, v15
	v_or_b32_e32 v23, 0x1000, v20
	v_lshl_or_b32 v16, v16, 9, 0x7c00
	s_wait_alu 0xfffd
	v_cndmask_b32_e32 v14, 0x7c00, v14, vcc_lo
	v_cmp_lt_i32_e32 vcc_lo, 5, v22
	v_med3_i32 v21, v21, 0, 13
	v_lshrrev_b32_e32 v2, 16, v2
	s_delay_alu instid0(VALU_DEP_4) | instskip(SKIP_1) | instid1(VALU_DEP_3)
	v_cndmask_b32_e64 v12, v14, v16, s1
	s_or_b32 vcc_lo, s0, vcc_lo
	v_lshrrev_b32_e32 v14, v21, v23
	s_wait_alu 0xfffe
	v_add_co_ci_u32_e32 v16, vcc_lo, 0, v19, vcc_lo
	v_cmp_ne_u32_e32 vcc_lo, 0, v8
	v_and_or_b32 v12, 0x8000, v7, v12
	v_lshlrev_b32_e32 v19, v21, v14
	s_wait_alu 0xfffd
	v_cndmask_b32_e64 v8, 0, 1, vcc_lo
	v_cmp_gt_i32_e32 vcc_lo, 31, v17
	v_and_b32_e32 v12, 0xffff, v12
	s_delay_alu instid0(VALU_DEP_3)
	v_lshl_or_b32 v8, v8, 9, 0x7c00
	s_wait_alu 0xfffd
	v_cndmask_b32_e32 v16, 0x7c00, v16, vcc_lo
	v_cmp_ne_u32_e32 vcc_lo, v19, v23
	v_mul_f64_e32 v[0:1], s[8:9], v[0:1]
	v_and_or_b32 v5, 0x1ff, v6, v5
	s_wait_alu 0xfffd
	v_cndmask_b32_e64 v19, 0, 1, vcc_lo
	v_cmp_eq_u32_e32 vcc_lo, 0x40f, v17
	v_lshrrev_b32_e32 v17, 16, v11
	s_wait_alu 0xfffd
	v_cndmask_b32_e32 v7, v16, v8, vcc_lo
	v_or_b32_e32 v8, v14, v19
	v_lshl_or_b32 v14, v15, 12, v20
	v_cmp_gt_i32_e32 vcc_lo, 1, v15
	v_mul_f16_e32 v21, v42, v17
	v_and_or_b32 v9, 0x8000, v9, v7
	s_wait_alu 0xfffd
	v_cndmask_b32_e32 v13, v14, v8, vcc_lo
	v_cmp_ne_u32_e32 vcc_lo, 0, v5
	v_cvt_f32_f16_e32 v8, v10
	v_lshrrev_b32_e32 v10, 8, v6
	v_bfe_u32 v14, v6, 20, 11
	v_and_b32_e32 v16, 7, v13
	s_wait_alu 0xfffd
	v_cndmask_b32_e64 v5, 0, 1, vcc_lo
	v_cvt_f64_f32_e32 v[7:8], v8
	v_fmac_f16_e32 v21, v41, v11
	v_mul_f16_e32 v11, v42, v11
	v_cmp_lt_i32_e32 vcc_lo, 5, v16
	v_and_or_b32 v5, 0xffe, v10, v5
	v_sub_nc_u32_e32 v10, 0x3f1, v14
	v_cmp_eq_u32_e64 s0, 3, v16
	v_lshl_or_b32 v16, v9, 16, v12
	v_lshrrev_b32_e32 v9, 2, v13
	v_or_b32_e32 v19, 0x1000, v5
	v_med3_i32 v10, v10, 0, 13
	s_or_b32 vcc_lo, s0, vcc_lo
	v_fma_f16 v11, v41, v17, -v11
	s_wait_alu 0xfffe
	v_add_co_ci_u32_e32 v9, vcc_lo, 0, v9, vcc_lo
	v_lshrrev_b32_e32 v12, v10, v19
	v_cmp_ne_u32_e32 vcc_lo, 0, v20
	v_and_or_b32 v0, 0x1ff, v1, v0
	v_cvt_f32_f16_e32 v11, v11
	s_delay_alu instid0(VALU_DEP_4) | instskip(SKIP_4) | instid1(VALU_DEP_3)
	v_lshlrev_b32_e32 v20, v10, v12
	s_wait_alu 0xfffd
	v_cndmask_b32_e64 v13, 0, 1, vcc_lo
	v_cvt_f32_f16_e32 v10, v21
	v_cmp_gt_i32_e32 vcc_lo, 31, v15
	v_lshl_or_b32 v13, v13, 9, 0x7c00
	s_wait_alu 0xfffd
	v_cndmask_b32_e32 v21, 0x7c00, v9, vcc_lo
	v_cvt_f64_f32_e32 v[9:10], v10
	v_cmp_ne_u32_e32 vcc_lo, v20, v19
	v_add_nc_u32_e32 v20, 0xfffffc10, v14
	v_lshrrev_b32_e32 v14, 8, v1
	s_wait_alu 0xfffd
	v_cndmask_b32_e64 v19, 0, 1, vcc_lo
	v_cmp_ne_u32_e32 vcc_lo, 0, v0
	v_lshl_or_b32 v17, v20, 12, v5
	v_mul_f64_e32 v[7:8], s[8:9], v[7:8]
	s_delay_alu instid0(VALU_DEP_4)
	v_or_b32_e32 v12, v12, v19
	s_wait_alu 0xfffd
	v_cndmask_b32_e64 v0, 0, 1, vcc_lo
	v_bfe_u32 v19, v1, 20, 11
	v_cmp_gt_i32_e32 vcc_lo, 1, v20
	v_lshrrev_b32_e32 v1, 16, v1
	s_delay_alu instid0(VALU_DEP_4) | instskip(NEXT) | instid1(VALU_DEP_4)
	v_and_or_b32 v0, 0xffe, v14, v0
	v_sub_nc_u32_e32 v14, 0x3f1, v19
	s_wait_alu 0xfffd
	v_cndmask_b32_e32 v17, v17, v12, vcc_lo
	v_cmp_eq_u32_e32 vcc_lo, 0x40f, v15
	v_cvt_f64_f32_e32 v[11:12], v11
	v_or_b32_e32 v22, 0x1000, v0
	v_med3_i32 v23, v14, 0, 13
	v_add_nc_u32_e32 v19, 0xfffffc10, v19
	s_wait_alu 0xfffd
	v_cndmask_b32_e32 v15, v21, v13, vcc_lo
	v_and_b32_e32 v21, 7, v17
	v_add_co_u32 v13, vcc_lo, v3, s2
	v_lshrrev_b32_e32 v24, v23, v22
	s_wait_alu 0xfffd
	v_add_co_ci_u32_e32 v14, vcc_lo, s3, v4, vcc_lo
	v_cmp_lt_i32_e32 vcc_lo, 5, v21
	v_cmp_eq_u32_e64 s0, 3, v21
	v_and_or_b32 v2, 0x8000, v2, v15
	v_lshrrev_b32_e32 v15, 2, v17
	v_lshlrev_b32_e32 v23, v23, v24
	v_lshl_or_b32 v21, v19, 12, v0
	s_or_b32 vcc_lo, s0, vcc_lo
	v_mul_f64_e32 v[9:10], s[8:9], v[9:10]
	s_wait_alu 0xfffe
	v_add_co_ci_u32_e32 v15, vcc_lo, 0, v15, vcc_lo
	v_cmp_ne_u32_e64 s1, v23, v22
	v_cmp_ne_u32_e32 vcc_lo, 0, v5
	v_and_b32_e32 v2, 0xffff, v2
	s_wait_alu 0xf1ff
	s_delay_alu instid0(VALU_DEP_3)
	v_cndmask_b32_e64 v17, 0, 1, s1
	s_wait_alu 0xfffd
	v_cndmask_b32_e64 v5, 0, 1, vcc_lo
	v_cmp_gt_i32_e32 vcc_lo, 31, v20
	v_and_or_b32 v7, 0x1ff, v8, v7
	v_lshrrev_b32_e32 v22, 8, v8
	v_or_b32_e32 v17, v24, v17
	v_lshl_or_b32 v5, v5, 9, 0x7c00
	s_wait_alu 0xfffd
	v_cndmask_b32_e32 v15, 0x7c00, v15, vcc_lo
	v_cmp_gt_i32_e32 vcc_lo, 1, v19
	s_wait_alu 0xfffd
	v_cndmask_b32_e32 v17, v21, v17, vcc_lo
	v_cmp_eq_u32_e32 vcc_lo, 0x40f, v20
	v_lshrrev_b32_e32 v20, 16, v6
	s_delay_alu instid0(VALU_DEP_3)
	v_and_b32_e32 v21, 7, v17
	s_wait_alu 0xfffd
	v_cndmask_b32_e32 v15, v15, v5, vcc_lo
	v_cmp_ne_u32_e32 vcc_lo, 0, v7
	v_mul_f64_e32 v[5:6], s[8:9], v[11:12]
	v_bfe_u32 v11, v8, 20, 11
	v_cmp_eq_u32_e64 s0, 3, v21
	v_and_or_b32 v12, 0x8000, v20, v15
	s_wait_alu 0xfffd
	v_cndmask_b32_e64 v7, 0, 1, vcc_lo
	v_cmp_lt_i32_e32 vcc_lo, 5, v21
	v_sub_nc_u32_e32 v15, 0x3f1, v11
	v_add_nc_u32_e32 v11, 0xfffffc10, v11
	v_lshl_or_b32 v2, v12, 16, v2
	v_lshrrev_b32_e32 v12, 2, v17
	v_and_or_b32 v7, 0xffe, v22, v7
	s_or_b32 vcc_lo, s0, vcc_lo
	v_med3_i32 v15, v15, 0, 13
	v_and_or_b32 v9, 0x1ff, v10, v9
	s_wait_alu 0xfffe
	v_add_co_ci_u32_e32 v12, vcc_lo, 0, v12, vcc_lo
	v_or_b32_e32 v17, 0x1000, v7
	v_cmp_ne_u32_e32 vcc_lo, 0, v0
	v_lshrrev_b32_e32 v21, 8, v10
	v_bfe_u32 v22, v10, 20, 11
	v_lshrrev_b32_e32 v8, 16, v8
	v_lshrrev_b32_e32 v20, v15, v17
	s_wait_alu 0xfffd
	v_cndmask_b32_e64 v0, 0, 1, vcc_lo
	v_cmp_gt_i32_e32 vcc_lo, 31, v19
	v_lshrrev_b32_e32 v10, 16, v10
	v_lshlrev_b32_e32 v15, v15, v20
	s_delay_alu instid0(VALU_DEP_4)
	v_lshl_or_b32 v0, v0, 9, 0x7c00
	s_wait_alu 0xfffd
	v_cndmask_b32_e32 v12, 0x7c00, v12, vcc_lo
	v_cmp_ne_u32_e32 vcc_lo, 0, v9
	s_wait_alu 0xfffd
	v_cndmask_b32_e64 v9, 0, 1, vcc_lo
	v_cmp_ne_u32_e32 vcc_lo, v15, v17
	v_sub_nc_u32_e32 v17, 0x3f1, v22
	v_and_or_b32 v5, 0x1ff, v6, v5
	s_delay_alu instid0(VALU_DEP_4)
	v_and_or_b32 v9, 0xffe, v21, v9
	s_wait_alu 0xfffd
	v_cndmask_b32_e64 v15, 0, 1, vcc_lo
	v_cmp_eq_u32_e32 vcc_lo, 0x40f, v19
	v_med3_i32 v17, v17, 0, 13
	v_bfe_u32 v21, v6, 20, 11
	v_or_b32_e32 v19, 0x1000, v9
	s_wait_alu 0xfffd
	v_cndmask_b32_e32 v0, v12, v0, vcc_lo
	v_or_b32_e32 v12, v20, v15
	v_lshl_or_b32 v15, v11, 12, v7
	v_cmp_gt_i32_e32 vcc_lo, 1, v11
	v_lshrrev_b32_e32 v20, 8, v6
	v_and_or_b32 v0, 0x8000, v1, v0
	v_lshrrev_b32_e32 v6, 16, v6
	s_wait_alu 0xfffd
	v_cndmask_b32_e32 v12, v15, v12, vcc_lo
	v_lshrrev_b32_e32 v15, v17, v19
	v_cmp_ne_u32_e32 vcc_lo, 0, v5
	s_delay_alu instid0(VALU_DEP_3) | instskip(NEXT) | instid1(VALU_DEP_3)
	v_and_b32_e32 v23, 7, v12
	v_lshlrev_b32_e32 v17, v17, v15
	s_wait_alu 0xfffd
	v_cndmask_b32_e64 v5, 0, 1, vcc_lo
	v_lshrrev_b32_e32 v12, 2, v12
	v_cmp_lt_i32_e32 vcc_lo, 5, v23
	v_cmp_ne_u32_e64 s0, v17, v19
	s_delay_alu instid0(VALU_DEP_4)
	v_and_or_b32 v1, 0xffe, v20, v5
	v_sub_nc_u32_e32 v5, 0x3f1, v21
	v_add_nc_u32_e32 v20, 0xfffffc10, v22
	s_wait_alu 0xf1ff
	v_cndmask_b32_e64 v17, 0, 1, s0
	v_cmp_eq_u32_e64 s0, 3, v23
	v_or_b32_e32 v19, 0x1000, v1
	v_med3_i32 v5, v5, 0, 13
	v_lshl_or_b32 v22, v20, 12, v9
	v_or_b32_e32 v15, v15, v17
	s_or_b32 vcc_lo, s0, vcc_lo
	s_wait_alu 0xfffe
	v_add_co_ci_u32_e32 v12, vcc_lo, 0, v12, vcc_lo
	v_lshrrev_b32_e32 v17, v5, v19
	v_cmp_gt_i32_e32 vcc_lo, 1, v20
	s_delay_alu instid0(VALU_DEP_2)
	v_lshlrev_b32_e32 v5, v5, v17
	s_wait_alu 0xfffd
	v_cndmask_b32_e32 v15, v22, v15, vcc_lo
	v_cmp_ne_u32_e32 vcc_lo, 0, v7
	s_wait_alu 0xfffd
	v_cndmask_b32_e64 v7, 0, 1, vcc_lo
	v_cmp_ne_u32_e32 vcc_lo, v5, v19
	v_add_nc_u32_e32 v19, 0xfffffc10, v21
	v_and_b32_e32 v21, 7, v15
	s_delay_alu instid0(VALU_DEP_4)
	v_lshl_or_b32 v7, v7, 9, 0x7c00
	s_wait_alu 0xfffd
	v_cndmask_b32_e64 v5, 0, 1, vcc_lo
	v_cmp_gt_i32_e32 vcc_lo, 31, v11
	v_cmp_gt_i32_e64 s1, 1, v19
	v_cmp_eq_u32_e64 s0, 3, v21
	s_delay_alu instid0(VALU_DEP_4)
	v_or_b32_e32 v5, v17, v5
	v_lshl_or_b32 v17, v19, 12, v1
	s_wait_alu 0xfffd
	v_cndmask_b32_e32 v12, 0x7c00, v12, vcc_lo
	v_cmp_lt_i32_e32 vcc_lo, 5, v21
	s_wait_alu 0xf1ff
	v_cndmask_b32_e64 v5, v17, v5, s1
	v_cmp_eq_u32_e64 s1, 0x40f, v11
	v_lshrrev_b32_e32 v11, 2, v15
	s_or_b32 vcc_lo, s0, vcc_lo
	s_delay_alu instid0(VALU_DEP_2) | instskip(SKIP_1) | instid1(VALU_DEP_2)
	v_cndmask_b32_e64 v7, v12, v7, s1
	s_wait_alu 0xfffe
	v_add_co_ci_u32_e32 v11, vcc_lo, 0, v11, vcc_lo
	v_and_b32_e32 v12, 7, v5
	v_cmp_ne_u32_e32 vcc_lo, 0, v9
	v_lshrrev_b32_e32 v5, 2, v5
	v_cmp_gt_i32_e64 s1, 31, v20
	v_and_or_b32 v7, 0x8000, v8, v7
	v_cmp_eq_u32_e64 s0, 3, v12
	s_wait_alu 0xfffd
	v_cndmask_b32_e64 v9, 0, 1, vcc_lo
	v_cmp_lt_i32_e32 vcc_lo, 5, v12
	s_wait_alu 0xf1ff
	v_cndmask_b32_e64 v11, 0x7c00, v11, s1
	v_and_b32_e32 v8, 0xffff, v0
	v_lshl_or_b32 v9, v9, 9, 0x7c00
	s_or_b32 vcc_lo, s0, vcc_lo
	s_wait_alu 0xfffe
	v_add_co_ci_u32_e32 v5, vcc_lo, 0, v5, vcc_lo
	v_cmp_ne_u32_e32 vcc_lo, 0, v1
	s_wait_alu 0xfffd
	v_cndmask_b32_e64 v1, 0, 1, vcc_lo
	v_cmp_eq_u32_e32 vcc_lo, 0x40f, v20
	s_delay_alu instid0(VALU_DEP_2) | instskip(SKIP_3) | instid1(VALU_DEP_2)
	v_lshl_or_b32 v1, v1, 9, 0x7c00
	s_wait_alu 0xfffd
	v_cndmask_b32_e32 v9, v11, v9, vcc_lo
	v_cmp_gt_i32_e32 vcc_lo, 31, v19
	v_and_or_b32 v9, 0x8000, v10, v9
	s_wait_alu 0xfffd
	v_cndmask_b32_e32 v5, 0x7c00, v5, vcc_lo
	v_cmp_eq_u32_e32 vcc_lo, 0x40f, v19
	v_lshl_or_b32 v10, v7, 16, v8
	v_and_b32_e32 v8, 0xffff, v9
	s_wait_alu 0xfffd
	v_cndmask_b32_e32 v5, v5, v1, vcc_lo
	v_add_co_u32 v0, vcc_lo, v13, s2
	s_wait_alu 0xfffd
	v_add_co_ci_u32_e32 v1, vcc_lo, s3, v14, vcc_lo
	s_delay_alu instid0(VALU_DEP_3) | instskip(NEXT) | instid1(VALU_DEP_3)
	v_and_or_b32 v7, 0x8000, v6, v5
	v_add_co_u32 v5, vcc_lo, v0, s2
	s_wait_alu 0xfffd
	s_delay_alu instid0(VALU_DEP_3) | instskip(NEXT) | instid1(VALU_DEP_3)
	v_add_co_ci_u32_e32 v6, vcc_lo, s3, v1, vcc_lo
	v_lshl_or_b32 v9, v7, 16, v8
	s_delay_alu instid0(VALU_DEP_3) | instskip(SKIP_1) | instid1(VALU_DEP_3)
	v_add_co_u32 v7, vcc_lo, v5, s2
	s_wait_alu 0xfffd
	v_add_co_ci_u32_e32 v8, vcc_lo, s3, v6, vcc_lo
	global_store_b32 v[3:4], v18, off
	global_store_b32 v[13:14], v16, off
	;; [unrolled: 1-line block ×5, first 2 shown]
.LBB0_18:
	s_nop 0
	s_sendmsg sendmsg(MSG_DEALLOC_VGPRS)
	s_endpgm
	.section	.rodata,"a",@progbits
	.p2align	6, 0x0
	.amdhsa_kernel bluestein_single_back_len1820_dim1_half_op_CI_CI
		.amdhsa_group_segment_fixed_size 7280
		.amdhsa_private_segment_fixed_size 0
		.amdhsa_kernarg_size 104
		.amdhsa_user_sgpr_count 2
		.amdhsa_user_sgpr_dispatch_ptr 0
		.amdhsa_user_sgpr_queue_ptr 0
		.amdhsa_user_sgpr_kernarg_segment_ptr 1
		.amdhsa_user_sgpr_dispatch_id 0
		.amdhsa_user_sgpr_private_segment_size 0
		.amdhsa_wavefront_size32 1
		.amdhsa_uses_dynamic_stack 0
		.amdhsa_enable_private_segment 0
		.amdhsa_system_sgpr_workgroup_id_x 1
		.amdhsa_system_sgpr_workgroup_id_y 0
		.amdhsa_system_sgpr_workgroup_id_z 0
		.amdhsa_system_sgpr_workgroup_info 0
		.amdhsa_system_vgpr_workitem_id 0
		.amdhsa_next_free_vgpr 241
		.amdhsa_next_free_sgpr 20
		.amdhsa_reserve_vcc 1
		.amdhsa_float_round_mode_32 0
		.amdhsa_float_round_mode_16_64 0
		.amdhsa_float_denorm_mode_32 3
		.amdhsa_float_denorm_mode_16_64 3
		.amdhsa_fp16_overflow 0
		.amdhsa_workgroup_processor_mode 1
		.amdhsa_memory_ordered 1
		.amdhsa_forward_progress 0
		.amdhsa_round_robin_scheduling 0
		.amdhsa_exception_fp_ieee_invalid_op 0
		.amdhsa_exception_fp_denorm_src 0
		.amdhsa_exception_fp_ieee_div_zero 0
		.amdhsa_exception_fp_ieee_overflow 0
		.amdhsa_exception_fp_ieee_underflow 0
		.amdhsa_exception_fp_ieee_inexact 0
		.amdhsa_exception_int_div_zero 0
	.end_amdhsa_kernel
	.text
.Lfunc_end0:
	.size	bluestein_single_back_len1820_dim1_half_op_CI_CI, .Lfunc_end0-bluestein_single_back_len1820_dim1_half_op_CI_CI
                                        ; -- End function
	.section	.AMDGPU.csdata,"",@progbits
; Kernel info:
; codeLenInByte = 25324
; NumSgprs: 22
; NumVgprs: 241
; ScratchSize: 0
; MemoryBound: 0
; FloatMode: 240
; IeeeMode: 1
; LDSByteSize: 7280 bytes/workgroup (compile time only)
; SGPRBlocks: 2
; VGPRBlocks: 30
; NumSGPRsForWavesPerEU: 22
; NumVGPRsForWavesPerEU: 241
; Occupancy: 5
; WaveLimiterHint : 1
; COMPUTE_PGM_RSRC2:SCRATCH_EN: 0
; COMPUTE_PGM_RSRC2:USER_SGPR: 2
; COMPUTE_PGM_RSRC2:TRAP_HANDLER: 0
; COMPUTE_PGM_RSRC2:TGID_X_EN: 1
; COMPUTE_PGM_RSRC2:TGID_Y_EN: 0
; COMPUTE_PGM_RSRC2:TGID_Z_EN: 0
; COMPUTE_PGM_RSRC2:TIDIG_COMP_CNT: 0
	.text
	.p2alignl 7, 3214868480
	.fill 96, 4, 3214868480
	.type	__hip_cuid_3abe96d38a7ef410,@object ; @__hip_cuid_3abe96d38a7ef410
	.section	.bss,"aw",@nobits
	.globl	__hip_cuid_3abe96d38a7ef410
__hip_cuid_3abe96d38a7ef410:
	.byte	0                               ; 0x0
	.size	__hip_cuid_3abe96d38a7ef410, 1

	.ident	"AMD clang version 19.0.0git (https://github.com/RadeonOpenCompute/llvm-project roc-6.4.0 25133 c7fe45cf4b819c5991fe208aaa96edf142730f1d)"
	.section	".note.GNU-stack","",@progbits
	.addrsig
	.addrsig_sym __hip_cuid_3abe96d38a7ef410
	.amdgpu_metadata
---
amdhsa.kernels:
  - .args:
      - .actual_access:  read_only
        .address_space:  global
        .offset:         0
        .size:           8
        .value_kind:     global_buffer
      - .actual_access:  read_only
        .address_space:  global
        .offset:         8
        .size:           8
        .value_kind:     global_buffer
      - .actual_access:  read_only
        .address_space:  global
        .offset:         16
        .size:           8
        .value_kind:     global_buffer
      - .actual_access:  read_only
        .address_space:  global
        .offset:         24
        .size:           8
        .value_kind:     global_buffer
      - .actual_access:  read_only
        .address_space:  global
        .offset:         32
        .size:           8
        .value_kind:     global_buffer
      - .offset:         40
        .size:           8
        .value_kind:     by_value
      - .address_space:  global
        .offset:         48
        .size:           8
        .value_kind:     global_buffer
      - .address_space:  global
        .offset:         56
        .size:           8
        .value_kind:     global_buffer
      - .address_space:  global
        .offset:         64
        .size:           8
        .value_kind:     global_buffer
      - .address_space:  global
        .offset:         72
        .size:           8
        .value_kind:     global_buffer
      - .offset:         80
        .size:           4
        .value_kind:     by_value
      - .address_space:  global
        .offset:         88
        .size:           8
        .value_kind:     global_buffer
      - .address_space:  global
        .offset:         96
        .size:           8
        .value_kind:     global_buffer
    .group_segment_fixed_size: 7280
    .kernarg_segment_align: 8
    .kernarg_segment_size: 104
    .language:       OpenCL C
    .language_version:
      - 2
      - 0
    .max_flat_workgroup_size: 182
    .name:           bluestein_single_back_len1820_dim1_half_op_CI_CI
    .private_segment_fixed_size: 0
    .sgpr_count:     22
    .sgpr_spill_count: 0
    .symbol:         bluestein_single_back_len1820_dim1_half_op_CI_CI.kd
    .uniform_work_group_size: 1
    .uses_dynamic_stack: false
    .vgpr_count:     241
    .vgpr_spill_count: 0
    .wavefront_size: 32
    .workgroup_processor_mode: 1
amdhsa.target:   amdgcn-amd-amdhsa--gfx1201
amdhsa.version:
  - 1
  - 2
...

	.end_amdgpu_metadata
